;; amdgpu-corpus repo=ROCm/rocFFT kind=compiled arch=gfx1201 opt=O3
	.text
	.amdgcn_target "amdgcn-amd-amdhsa--gfx1201"
	.amdhsa_code_object_version 6
	.protected	bluestein_single_fwd_len900_dim1_sp_op_CI_CI ; -- Begin function bluestein_single_fwd_len900_dim1_sp_op_CI_CI
	.globl	bluestein_single_fwd_len900_dim1_sp_op_CI_CI
	.p2align	8
	.type	bluestein_single_fwd_len900_dim1_sp_op_CI_CI,@function
bluestein_single_fwd_len900_dim1_sp_op_CI_CI: ; @bluestein_single_fwd_len900_dim1_sp_op_CI_CI
; %bb.0:
	s_load_b128 s[12:15], s[0:1], 0x28
	v_mul_u32_u24_e32 v1, 0x2d9, v0
	v_mov_b32_e32 v65, 0
	s_mov_b32 s2, exec_lo
	s_delay_alu instid0(VALU_DEP_2) | instskip(NEXT) | instid1(VALU_DEP_1)
	v_lshrrev_b32_e32 v1, 16, v1
	v_lshl_add_u32 v64, ttmp9, 1, v1
	s_wait_kmcnt 0x0
	s_delay_alu instid0(VALU_DEP_1)
	v_cmpx_gt_u64_e64 s[12:13], v[64:65]
	s_cbranch_execz .LBB0_18
; %bb.1:
	s_clause 0x1
	s_load_b128 s[4:7], s[0:1], 0x18
	s_load_b128 s[8:11], s[0:1], 0x0
	v_mul_lo_u16 v2, 0x5a, v1
	s_delay_alu instid0(VALU_DEP_1)
	v_sub_nc_u16 v16, v0, v2
	s_wait_kmcnt 0x0
	s_load_b128 s[16:19], s[4:5], 0x0
	s_wait_kmcnt 0x0
	v_mad_co_u64_u32 v[2:3], null, s18, v64, 0
	v_and_b32_e32 v65, 0xffff, v16
	s_mul_u64 s[2:3], s[16:17], 0x2d0
	s_delay_alu instid0(VALU_DEP_2) | instskip(NEXT) | instid1(VALU_DEP_2)
	v_mov_b32_e32 v0, v3
	v_mad_co_u64_u32 v[4:5], null, s16, v65, 0
	v_lshlrev_b32_e32 v108, 3, v65
	s_clause 0x3
	global_load_b64 v[75:76], v108, s[8:9]
	global_load_b64 v[77:78], v108, s[8:9] offset:720
	global_load_b64 v[81:82], v108, s[8:9] offset:1440
	;; [unrolled: 1-line block ×3, first 2 shown]
	v_mov_b32_e32 v3, v5
	v_mad_co_u64_u32 v[5:6], null, s19, v64, v[0:1]
	s_clause 0x3
	global_load_b64 v[71:72], v108, s[8:9] offset:2880
	global_load_b64 v[73:74], v108, s[8:9] offset:3600
	;; [unrolled: 1-line block ×4, first 2 shown]
	v_mad_co_u64_u32 v[6:7], null, s17, v65, v[3:4]
	v_mov_b32_e32 v3, v5
	s_delay_alu instid0(VALU_DEP_2) | instskip(NEXT) | instid1(VALU_DEP_2)
	v_mov_b32_e32 v5, v6
	v_lshlrev_b64_e32 v[2:3], 3, v[2:3]
	s_delay_alu instid0(VALU_DEP_2) | instskip(NEXT) | instid1(VALU_DEP_2)
	v_lshlrev_b64_e32 v[4:5], 3, v[4:5]
	v_add_co_u32 v0, vcc_lo, s14, v2
	s_delay_alu instid0(VALU_DEP_3) | instskip(NEXT) | instid1(VALU_DEP_2)
	v_add_co_ci_u32_e32 v3, vcc_lo, s15, v3, vcc_lo
	v_add_co_u32 v2, vcc_lo, v0, v4
	s_wait_alu 0xfffd
	s_delay_alu instid0(VALU_DEP_2) | instskip(SKIP_1) | instid1(VALU_DEP_3)
	v_add_co_ci_u32_e32 v3, vcc_lo, v3, v5, vcc_lo
	v_and_b32_e32 v0, 1, v1
	v_add_co_u32 v4, vcc_lo, v2, s2
	s_wait_alu 0xfffd
	s_delay_alu instid0(VALU_DEP_3) | instskip(SKIP_4) | instid1(VALU_DEP_2)
	v_add_co_ci_u32_e32 v5, vcc_lo, s3, v3, vcc_lo
	global_load_b64 v[2:3], v[2:3], off
	v_add_co_u32 v6, vcc_lo, v4, s2
	s_wait_alu 0xfffd
	v_add_co_ci_u32_e32 v7, vcc_lo, s3, v5, vcc_lo
	v_add_co_u32 v8, vcc_lo, v6, s2
	s_wait_alu 0xfffd
	s_delay_alu instid0(VALU_DEP_2) | instskip(NEXT) | instid1(VALU_DEP_2)
	v_add_co_ci_u32_e32 v9, vcc_lo, s3, v7, vcc_lo
	v_add_co_u32 v10, vcc_lo, v8, s2
	s_wait_alu 0xfffd
	s_delay_alu instid0(VALU_DEP_2)
	v_add_co_ci_u32_e32 v11, vcc_lo, s3, v9, vcc_lo
	s_clause 0x2
	global_load_b64 v[4:5], v[4:5], off
	global_load_b64 v[6:7], v[6:7], off
	;; [unrolled: 1-line block ×3, first 2 shown]
	v_add_co_u32 v12, vcc_lo, v10, s2
	s_wait_alu 0xfffd
	v_add_co_ci_u32_e32 v13, vcc_lo, s3, v11, vcc_lo
	global_load_b64 v[10:11], v[10:11], off
	v_add_co_u32 v14, vcc_lo, v12, s2
	s_wait_alu 0xfffd
	v_add_co_ci_u32_e32 v15, vcc_lo, s3, v13, vcc_lo
	global_load_b64 v[12:13], v[12:13], off
	v_add_co_u32 v17, vcc_lo, v14, s2
	s_wait_alu 0xfffd
	v_add_co_ci_u32_e32 v18, vcc_lo, s3, v15, vcc_lo
	global_load_b64 v[14:15], v[14:15], off
	v_add_co_u32 v19, vcc_lo, v17, s2
	s_wait_alu 0xfffd
	v_add_co_ci_u32_e32 v20, vcc_lo, s3, v18, vcc_lo
	global_load_b64 v[21:22], v[17:18], off
	v_add_co_u32 v17, vcc_lo, v19, s2
	s_wait_alu 0xfffd
	v_add_co_ci_u32_e32 v18, vcc_lo, s3, v20, vcc_lo
	global_load_b64 v[23:24], v[19:20], off
	s_clause 0x1
	global_load_b64 v[83:84], v108, s[8:9] offset:5760
	global_load_b64 v[85:86], v108, s[8:9] offset:6480
	global_load_b64 v[25:26], v[17:18], off
	v_cmp_eq_u32_e32 vcc_lo, 1, v0
	v_and_b32_e32 v1, 0xff, v16
	s_load_b128 s[4:7], s[6:7], 0x0
	s_load_b64 s[2:3], s[0:1], 0x38
	s_mov_b32 s0, 0
	v_cndmask_b32_e64 v0, 0, 0x384, vcc_lo
	v_cmp_gt_u16_e32 vcc_lo, 30, v16
	s_delay_alu instid0(VALU_DEP_2) | instskip(SKIP_1) | instid1(VALU_DEP_1)
	v_lshlrev_b32_e32 v106, 3, v0
	s_wait_loadcnt 0xa
	v_dual_mul_f32 v20, v4, v78 :: v_dual_add_nc_u32 v105, v106, v108
	v_mul_lo_u16 v0, 0xcd, v1
	v_mul_f32_e32 v1, v2, v76
	v_mul_f32_e32 v27, v5, v78
	s_delay_alu instid0(VALU_DEP_4) | instskip(NEXT) | instid1(VALU_DEP_4)
	v_fma_f32 v28, v5, v77, -v20
	v_lshrrev_b16 v29, 11, v0
	s_delay_alu instid0(VALU_DEP_3)
	v_dual_mul_f32 v0, v3, v76 :: v_dual_fmac_f32 v27, v4, v77
	s_wait_loadcnt 0x8
	v_mul_f32_e32 v4, v9, v68
	v_mul_f32_e32 v5, v8, v68
	v_mul_lo_u16 v30, v29, 10
	v_fmac_f32_e32 v0, v2, v75
	v_mul_f32_e32 v2, v7, v82
	v_add_nc_u32_e32 v18, 0x1000, v105
	v_add_nc_u32_e32 v19, 0x400, v105
	;; [unrolled: 1-line block ×3, first 2 shown]
	v_fmac_f32_e32 v4, v8, v67
	v_fma_f32 v1, v3, v75, -v1
	v_mul_f32_e32 v3, v6, v82
	v_add_nc_u32_e32 v17, 0x800, v105
	v_fmac_f32_e32 v2, v6, v81
	s_wait_loadcnt 0x7
	v_mul_f32_e32 v6, v11, v72
	s_wait_loadcnt 0x6
	v_mul_f32_e32 v8, v13, v74
	v_fma_f32 v3, v7, v81, -v3
	v_mul_f32_e32 v7, v10, v72
	v_fma_f32 v5, v9, v67, -v5
	v_dual_mul_f32 v9, v12, v74 :: v_dual_fmac_f32 v6, v10, v71
	s_wait_loadcnt 0x5
	v_mul_f32_e32 v10, v15, v80
	v_fma_f32 v7, v11, v71, -v7
	v_dual_mul_f32 v11, v14, v80 :: v_dual_fmac_f32 v8, v12, v73
	s_wait_loadcnt 0x4
	v_mul_f32_e32 v12, v22, v70
	v_fma_f32 v9, v13, v73, -v9
	v_mul_f32_e32 v13, v21, v70
	v_fma_f32 v11, v15, v79, -v11
	s_wait_loadcnt 0x2
	v_dual_mul_f32 v15, v23, v84 :: v_dual_fmac_f32 v12, v21, v69
	s_wait_loadcnt 0x0
	v_mul_f32_e32 v20, v26, v86
	v_dual_mul_f32 v21, v25, v86 :: v_dual_fmac_f32 v10, v14, v79
	v_mul_f32_e32 v14, v24, v84
	v_fma_f32 v13, v22, v69, -v13
	v_fma_f32 v15, v24, v83, -v15
	v_fmac_f32_e32 v20, v25, v85
	v_fma_f32 v21, v26, v85, -v21
	v_fmac_f32_e32 v14, v23, v83
	ds_store_2addr_b64 v105, v[0:1], v[27:28] offset1:90
	ds_store_2addr_b64 v19, v[2:3], v[4:5] offset0:52 offset1:142
	ds_store_2addr_b64 v17, v[6:7], v[8:9] offset0:104 offset1:194
	;; [unrolled: 1-line block ×4, first 2 shown]
	global_wb scope:SCOPE_SE
	s_wait_dscnt 0x0
	s_wait_kmcnt 0x0
	s_barrier_signal -1
	s_barrier_wait -1
	global_inv scope:SCOPE_SE
	ds_load_2addr_b64 v[0:3], v105 offset1:90
	ds_load_2addr_b64 v[4:7], v19 offset0:52 offset1:142
	ds_load_2addr_b64 v[8:11], v17 offset0:104 offset1:194
	;; [unrolled: 1-line block ×4, first 2 shown]
	v_mul_lo_u16 v24, v16, 10
	v_sub_nc_u16 v25, v16, v30
	global_wb scope:SCOPE_SE
	s_wait_dscnt 0x0
	s_barrier_signal -1
	s_barrier_wait -1
	v_and_b32_e32 v24, 0xffff, v24
	v_and_b32_e32 v32, 0xff, v25
	global_inv scope:SCOPE_SE
	v_add_f32_e32 v26, v0, v4
	v_sub_f32_e32 v31, v4, v8
	v_add_f32_e32 v27, v8, v12
	v_add_f32_e32 v43, v5, v21
	v_sub_f32_e32 v33, v20, v12
	v_add_f32_e32 v34, v4, v20
	v_dual_sub_f32 v28, v5, v21 :: v_dual_sub_f32 v47, v7, v23
	v_dual_sub_f32 v30, v9, v13 :: v_dual_sub_f32 v49, v6, v10
	v_sub_f32_e32 v35, v8, v4
	v_dual_sub_f32 v37, v12, v20 :: v_dual_add_f32 v38, v1, v5
	v_add_f32_e32 v51, v6, v22
	v_dual_add_f32 v39, v9, v13 :: v_dual_sub_f32 v40, v8, v12
	v_add_f32_e32 v55, v11, v15
	v_sub_f32_e32 v41, v5, v9
	v_dual_sub_f32 v42, v21, v13 :: v_dual_sub_f32 v57, v7, v11
	v_sub_f32_e32 v5, v9, v5
	v_dual_sub_f32 v44, v13, v21 :: v_dual_add_f32 v59, v7, v23
	v_add_f32_e32 v45, v2, v6
	v_add_f32_e32 v46, v10, v14
	v_sub_f32_e32 v50, v22, v14
	v_add_f32_e32 v54, v3, v7
	v_add_f32_e32 v8, v26, v8
	v_fma_f32 v26, -0.5, v27, v0
	v_add_f32_e32 v27, v31, v33
	v_sub_f32_e32 v58, v23, v15
	v_fma_f32 v31, -0.5, v34, v0
	v_dual_sub_f32 v4, v4, v20 :: v_dual_sub_f32 v53, v14, v22
	v_dual_sub_f32 v48, v11, v15 :: v_dual_add_f32 v9, v38, v9
	v_sub_f32_e32 v52, v10, v6
	v_dual_sub_f32 v6, v6, v22 :: v_dual_sub_f32 v7, v11, v7
	v_add_f32_e32 v0, v35, v37
	v_fma_f32 v33, -0.5, v39, v1
	v_add_f32_e32 v34, v41, v42
	v_fma_f32 v35, -0.5, v43, v1
	v_add_f32_e32 v1, v5, v44
	v_add_f32_e32 v5, v45, v10
	v_dual_add_f32 v37, v49, v50 :: v_dual_sub_f32 v60, v15, v23
	v_add_f32_e32 v41, v57, v58
	v_sub_f32_e32 v56, v10, v14
	v_fma_f32 v10, -0.5, v46, v2
	v_add_f32_e32 v11, v54, v11
	v_add_f32_e32 v7, v7, v60
	v_fma_f32 v39, -0.5, v55, v3
	v_fmac_f32_e32 v3, -0.5, v59
	v_fmamk_f32 v42, v30, 0xbf737871, v31
	v_dual_fmac_f32 v31, 0x3f737871, v30 :: v_dual_add_f32 v8, v8, v12
	v_dual_add_f32 v9, v9, v13 :: v_dual_fmamk_f32 v12, v28, 0x3f737871, v26
	v_dual_add_f32 v5, v5, v14 :: v_dual_fmac_f32 v26, 0xbf737871, v28
	v_add_f32_e32 v11, v11, v15
	v_fma_f32 v2, -0.5, v51, v2
	v_add_f32_e32 v38, v52, v53
	v_fmamk_f32 v13, v4, 0xbf737871, v33
	v_fmac_f32_e32 v33, 0x3f737871, v4
	v_dual_fmamk_f32 v43, v40, 0x3f737871, v35 :: v_dual_fmamk_f32 v14, v47, 0x3f737871, v10
	v_dual_fmac_f32 v35, 0xbf737871, v40 :: v_dual_fmac_f32 v10, 0xbf737871, v47
	v_fmamk_f32 v45, v56, 0x3f737871, v3
	s_delay_alu instid0(VALU_DEP_4) | instskip(SKIP_4) | instid1(VALU_DEP_3)
	v_dual_fmac_f32 v12, 0x3f167918, v30 :: v_dual_fmac_f32 v33, 0x3f167918, v40
	v_dual_fmac_f32 v26, 0xbf167918, v30 :: v_dual_fmac_f32 v31, 0xbf167918, v28
	v_dual_fmamk_f32 v44, v48, 0xbf737871, v2 :: v_dual_fmamk_f32 v15, v6, 0xbf737871, v39
	v_dual_fmac_f32 v2, 0x3f737871, v48 :: v_dual_fmac_f32 v39, 0x3f737871, v6
	v_dual_add_f32 v8, v8, v20 :: v_dual_add_f32 v9, v9, v21
	v_dual_fmac_f32 v35, 0x3f167918, v4 :: v_dual_fmac_f32 v44, 0x3f167918, v47
	v_dual_fmac_f32 v12, 0x3e9e377a, v27 :: v_dual_fmac_f32 v31, 0x3e9e377a, v0
	v_dual_fmac_f32 v43, 0xbf167918, v4 :: v_dual_add_f32 v4, v5, v22
	v_dual_fmac_f32 v10, 0xbf167918, v48 :: v_dual_fmac_f32 v45, 0xbf167918, v6
	v_dual_add_f32 v5, v11, v23 :: v_dual_fmac_f32 v14, 0x3f167918, v48
	v_dual_fmac_f32 v13, 0xbf167918, v40 :: v_dual_fmac_f32 v2, 0xbf167918, v47
	s_delay_alu instid0(VALU_DEP_4) | instskip(SKIP_1) | instid1(VALU_DEP_3)
	v_dual_fmac_f32 v43, 0x3e9e377a, v1 :: v_dual_fmac_f32 v44, 0x3e9e377a, v38
	v_fmac_f32_e32 v35, 0x3e9e377a, v1
	v_dual_fmac_f32 v45, 0x3e9e377a, v7 :: v_dual_fmac_f32 v2, 0x3e9e377a, v38
	v_add_f32_e32 v1, v9, v5
	v_fmac_f32_e32 v14, 0x3e9e377a, v37
	v_fmac_f32_e32 v42, 0x3f167918, v28
	s_delay_alu instid0(VALU_DEP_4) | instskip(SKIP_1) | instid1(VALU_DEP_3)
	v_mul_f32_e32 v21, 0x3f737871, v45
	v_dual_fmac_f32 v33, 0x3e9e377a, v34 :: v_dual_fmac_f32 v26, 0x3e9e377a, v27
	v_dual_fmac_f32 v13, 0x3e9e377a, v34 :: v_dual_fmac_f32 v42, 0x3e9e377a, v0
	s_delay_alu instid0(VALU_DEP_3)
	v_fmac_f32_e32 v21, 0x3e9e377a, v44
	v_fmac_f32_e32 v3, 0xbf737871, v56
	;; [unrolled: 1-line block ×3, first 2 shown]
	v_add_f32_e32 v0, v8, v4
	v_mul_f32_e32 v20, 0x3f4f1bbd, v14
	v_mul_f32_e32 v23, 0xbf167918, v14
	v_fmac_f32_e32 v3, 0x3f167918, v6
	v_fmac_f32_e32 v10, 0x3e9e377a, v37
	v_sub_f32_e32 v14, v42, v21
	v_fmac_f32_e32 v15, 0x3e9e377a, v41
	v_fmac_f32_e32 v39, 0x3f167918, v56
	v_fmac_f32_e32 v3, 0x3e9e377a, v7
	v_sub_f32_e32 v7, v9, v5
	v_mul_f32_e32 v5, 0x3f4f1bbd, v10
	v_fmac_f32_e32 v20, 0x3f167918, v15
	v_dual_fmac_f32 v39, 0x3e9e377a, v41 :: v_dual_sub_f32 v6, v8, v4
	v_mul_f32_e32 v8, 0x3e9e377a, v3
	v_mul_f32_e32 v27, 0xbf737871, v44
	;; [unrolled: 1-line block ×3, first 2 shown]
	s_delay_alu instid0(VALU_DEP_4)
	v_fma_f32 v28, 0x3f167918, v39, -v5
	v_mul_f32_e32 v9, 0x3f4f1bbd, v39
	v_fma_f32 v30, 0xbf737871, v2, -v8
	v_add_f32_e32 v2, v12, v20
	v_dual_sub_f32 v12, v12, v20 :: v_dual_fmac_f32 v23, 0x3f4f1bbd, v15
	v_fmac_f32_e32 v27, 0x3e9e377a, v45
	v_fma_f32 v22, 0x3f737871, v3, -v4
	v_lshl_add_u32 v109, v24, 3, v106
	v_mad_co_u64_u32 v[24:25], null, 0x48, v32, s[10:11]
	v_fma_f32 v34, 0xbf167918, v10, -v9
	v_dual_add_f32 v3, v13, v23 :: v_dual_add_f32 v8, v42, v21
	v_add_f32_e32 v10, v31, v22
	v_add_f32_e32 v9, v43, v27
	v_dual_add_f32 v11, v35, v30 :: v_dual_add_f32 v4, v26, v28
	v_add_f32_e32 v5, v33, v34
	v_sub_f32_e32 v13, v13, v23
	v_sub_f32_e32 v15, v43, v27
	;; [unrolled: 1-line block ×3, first 2 shown]
	v_dual_sub_f32 v22, v26, v28 :: v_dual_sub_f32 v21, v35, v30
	v_dual_sub_f32 v23, v33, v34 :: v_dual_and_b32 v28, 0xffff, v29
	ds_store_b128 v109, v[0:3]
	ds_store_b128 v109, v[8:11] offset:16
	ds_store_b128 v109, v[4:7] offset:32
	;; [unrolled: 1-line block ×4, first 2 shown]
	global_wb scope:SCOPE_SE
	s_wait_dscnt 0x0
	s_barrier_signal -1
	s_barrier_wait -1
	global_inv scope:SCOPE_SE
	s_clause 0x4
	global_load_b128 v[12:15], v[24:25], off
	global_load_b128 v[8:11], v[24:25], off offset:16
	global_load_b128 v[4:7], v[24:25], off offset:32
	global_load_b128 v[0:3], v[24:25], off offset:48
	global_load_b64 v[87:88], v[24:25], off offset:64
	v_mul_u32_u24_e32 v33, 0x64, v28
	ds_load_2addr_b64 v[20:23], v105 offset1:90
	ds_load_2addr_b64 v[24:27], v19 offset0:52 offset1:142
	ds_load_2addr_b64 v[28:31], v17 offset0:104 offset1:194
	;; [unrolled: 1-line block ×3, first 2 shown]
	v_add_nc_u32_e32 v40, v33, v32
	ds_load_2addr_b64 v[32:35], v18 offset0:28 offset1:118
	global_wb scope:SCOPE_SE
	s_wait_loadcnt_dscnt 0x0
	s_barrier_signal -1
	s_barrier_wait -1
	v_lshl_add_u32 v107, v40, 3, v106
	global_inv scope:SCOPE_SE
	v_mul_f32_e32 v40, v23, v13
	v_dual_mul_f32 v41, v22, v13 :: v_dual_mul_f32 v46, v29, v11
	v_mul_f32_e32 v42, v25, v15
	v_mul_f32_e32 v44, v27, v9
	v_dual_mul_f32 v45, v26, v9 :: v_dual_mul_f32 v50, v33, v7
	v_dual_mul_f32 v49, v30, v5 :: v_dual_mul_f32 v54, v37, v3
	;; [unrolled: 1-line block ×3, first 2 shown]
	v_mul_f32_e32 v48, v31, v5
	v_fma_f32 v40, v22, v12, -v40
	v_fma_f32 v22, v24, v14, -v42
	v_mul_f32_e32 v47, v28, v11
	v_fma_f32 v24, v28, v10, -v46
	v_fmac_f32_e32 v41, v23, v12
	v_fma_f32 v23, v26, v8, -v44
	v_fma_f32 v26, v32, v6, -v50
	;; [unrolled: 1-line block ×3, first 2 shown]
	v_mul_f32_e32 v51, v32, v7
	v_dual_mul_f32 v55, v36, v3 :: v_dual_mul_f32 v52, v35, v1
	v_dual_fmac_f32 v45, v27, v8 :: v_dual_add_f32 v54, v40, v23
	s_delay_alu instid0(VALU_DEP_2)
	v_dual_add_f32 v36, v22, v28 :: v_dual_fmac_f32 v55, v37, v2
	v_fmac_f32_e32 v47, v29, v10
	v_mul_f32_e32 v57, v38, v88
	v_fma_f32 v29, v38, v87, -v56
	v_dual_sub_f32 v38, v26, v28 :: v_dual_fmac_f32 v51, v33, v6
	v_fmac_f32_e32 v43, v25, v14
	v_fma_f32 v25, v30, v4, -v48
	v_fma_f32 v27, v34, v0, -v52
	v_dual_fmac_f32 v49, v31, v4 :: v_dual_add_f32 v30, v20, v22
	s_delay_alu instid0(VALU_DEP_3) | instskip(NEXT) | instid1(VALU_DEP_3)
	v_dual_sub_f32 v37, v24, v22 :: v_dual_sub_f32 v60, v23, v25
	v_sub_f32_e32 v66, v27, v29
	v_dual_sub_f32 v48, v55, v51 :: v_dual_mul_f32 v53, v34, v1
	v_sub_f32_e32 v32, v43, v55
	v_add_f32_e32 v50, v43, v55
	v_dual_sub_f32 v46, v43, v47 :: v_dual_add_f32 v31, v24, v26
	v_sub_f32_e32 v52, v51, v55
	v_add_f32_e32 v42, v47, v51
	v_add_f32_e32 v56, v25, v27
	v_fmac_f32_e32 v57, v39, v87
	v_fmac_f32_e32 v53, v35, v0
	v_dual_sub_f32 v35, v28, v26 :: v_dual_add_f32 v62, v23, v29
	v_dual_add_f32 v39, v21, v43 :: v_dual_sub_f32 v34, v22, v24
	v_sub_f32_e32 v44, v24, v26
	v_sub_f32_e32 v58, v45, v57
	;; [unrolled: 1-line block ×4, first 2 shown]
	v_dual_add_f32 v90, v49, v53 :: v_dual_sub_f32 v43, v47, v43
	v_add_f32_e32 v94, v45, v57
	v_sub_f32_e32 v23, v23, v29
	v_fma_f32 v96, -0.5, v31, v20
	v_fma_f32 v36, -0.5, v36, v20
	v_add_f32_e32 v20, v30, v24
	v_add_f32_e32 v24, v37, v38
	;; [unrolled: 1-line block ×3, first 2 shown]
	v_fma_f32 v37, -0.5, v56, v40
	v_dual_fmac_f32 v40, -0.5, v62 :: v_dual_add_f32 v89, v41, v45
	v_add_f32_e32 v38, v63, v66
	v_dual_sub_f32 v33, v47, v51 :: v_dual_sub_f32 v92, v45, v49
	v_dual_sub_f32 v22, v22, v28 :: v_dual_sub_f32 v61, v29, v27
	v_dual_sub_f32 v93, v57, v53 :: v_dual_add_f32 v20, v20, v26
	v_sub_f32_e32 v91, v25, v27
	v_sub_f32_e32 v45, v49, v45
	v_dual_sub_f32 v95, v53, v57 :: v_dual_add_f32 v26, v30, v51
	v_fma_f32 v42, -0.5, v42, v21
	v_fma_f32 v50, -0.5, v50, v21
	v_dual_add_f32 v21, v34, v35 :: v_dual_add_f32 v34, v43, v52
	v_add_f32_e32 v25, v54, v25
	v_dual_add_f32 v39, v89, v49 :: v_dual_fmamk_f32 v30, v59, 0xbf737871, v40
	v_fma_f32 v43, -0.5, v90, v41
	v_dual_fmamk_f32 v47, v32, 0x3f737871, v96 :: v_dual_add_f32 v26, v26, v55
	v_fmac_f32_e32 v96, 0xbf737871, v32
	v_add_f32_e32 v31, v46, v48
	v_add_f32_e32 v35, v60, v61
	v_dual_add_f32 v45, v45, v95 :: v_dual_fmamk_f32 v52, v23, 0xbf737871, v43
	v_fmamk_f32 v48, v33, 0xbf737871, v36
	v_fmac_f32_e32 v36, 0x3f737871, v33
	v_dual_fmamk_f32 v49, v22, 0xbf737871, v42 :: v_dual_add_f32 v28, v20, v28
	v_dual_fmac_f32 v42, 0x3f737871, v22 :: v_dual_add_f32 v25, v25, v27
	v_fmac_f32_e32 v96, 0xbf167918, v33
	v_fmamk_f32 v51, v44, 0x3f737871, v50
	v_dual_fmac_f32 v50, 0xbf737871, v44 :: v_dual_add_f32 v39, v39, v53
	v_fmac_f32_e32 v48, 0x3f167918, v32
	v_dual_add_f32 v46, v92, v93 :: v_dual_fmac_f32 v41, -0.5, v94
	v_fmac_f32_e32 v40, 0x3f737871, v59
	v_dual_fmac_f32 v47, 0x3f167918, v33 :: v_dual_fmac_f32 v42, 0x3f167918, v44
	v_dual_fmac_f32 v36, 0xbf167918, v32 :: v_dual_fmac_f32 v51, 0xbf167918, v22
	v_fmac_f32_e32 v50, 0x3f167918, v22
	v_dual_add_f32 v22, v25, v29 :: v_dual_fmamk_f32 v27, v58, 0x3f737871, v37
	v_dual_fmac_f32 v30, 0x3f167918, v58 :: v_dual_add_f32 v25, v39, v57
	v_fmac_f32_e32 v52, 0xbf167918, v91
	v_fmac_f32_e32 v43, 0x3f737871, v23
	v_dual_fmac_f32 v49, 0xbf167918, v44 :: v_dual_fmac_f32 v40, 0xbf167918, v58
	v_dual_fmac_f32 v47, 0x3e9e377a, v21 :: v_dual_fmac_f32 v48, 0x3e9e377a, v24
	s_delay_alu instid0(VALU_DEP_2) | instskip(SKIP_3) | instid1(VALU_DEP_3)
	v_dual_fmac_f32 v96, 0x3e9e377a, v21 :: v_dual_fmac_f32 v49, 0x3e9e377a, v31
	v_dual_add_f32 v20, v28, v22 :: v_dual_fmac_f32 v27, 0x3f167918, v59
	v_dual_add_f32 v21, v26, v25 :: v_dual_fmac_f32 v52, 0x3e9e377a, v46
	v_fmamk_f32 v53, v91, 0x3f737871, v41
	v_dual_fmac_f32 v50, 0x3e9e377a, v34 :: v_dual_fmac_f32 v27, 0x3e9e377a, v35
	v_dual_sub_f32 v22, v28, v22 :: v_dual_fmac_f32 v43, 0x3f167918, v91
	s_delay_alu instid0(VALU_DEP_4) | instskip(SKIP_2) | instid1(VALU_DEP_4)
	v_mul_f32_e32 v32, 0x3f167918, v52
	v_fmac_f32_e32 v40, 0x3e9e377a, v38
	v_dual_fmac_f32 v36, 0x3e9e377a, v24 :: v_dual_fmac_f32 v51, 0x3e9e377a, v34
	v_dual_fmac_f32 v42, 0x3e9e377a, v31 :: v_dual_fmac_f32 v43, 0x3e9e377a, v46
	s_delay_alu instid0(VALU_DEP_4)
	v_fmac_f32_e32 v32, 0x3f4f1bbd, v27
	v_fmac_f32_e32 v53, 0xbf167918, v23
	v_fmac_f32_e32 v30, 0x3e9e377a, v38
	v_fmac_f32_e32 v41, 0xbf737871, v91
	s_wait_alu 0xfffe
	v_dual_fmac_f32 v37, 0xbf737871, v58 :: v_dual_mov_b32 v66, s0
	v_mul_f32_e32 v28, 0x3f4f1bbd, v43
	v_mul_f32_e32 v38, 0xbf737871, v30
	v_fmac_f32_e32 v41, 0x3f167918, v23
	v_sub_f32_e32 v23, v26, v25
	s_delay_alu instid0(VALU_DEP_2) | instskip(NEXT) | instid1(VALU_DEP_1)
	v_dual_fmac_f32 v41, 0x3e9e377a, v45 :: v_dual_mul_f32 v24, 0x3e9e377a, v40
	v_mul_f32_e32 v26, 0x3e9e377a, v41
	s_delay_alu instid0(VALU_DEP_2) | instskip(SKIP_1) | instid1(VALU_DEP_3)
	v_fma_f32 v39, 0x3f737871, v41, -v24
	v_dual_add_f32 v24, v47, v32 :: v_dual_fmac_f32 v37, 0xbf167918, v59
	v_fma_f32 v40, 0xbf737871, v40, -v26
	s_delay_alu instid0(VALU_DEP_2) | instskip(SKIP_1) | instid1(VALU_DEP_3)
	v_fmac_f32_e32 v37, 0x3e9e377a, v35
	v_mul_f32_e32 v35, 0xbf167918, v27
	v_add_f32_e32 v29, v50, v40
	s_delay_alu instid0(VALU_DEP_3) | instskip(NEXT) | instid1(VALU_DEP_3)
	v_mul_f32_e32 v25, 0x3f4f1bbd, v37
	v_fmac_f32_e32 v35, 0x3f4f1bbd, v52
	v_dual_sub_f32 v32, v47, v32 :: v_dual_fmac_f32 v53, 0x3e9e377a, v45
                                        ; implicit-def: $vgpr52
	s_delay_alu instid0(VALU_DEP_3) | instskip(SKIP_1) | instid1(VALU_DEP_3)
	v_fma_f32 v41, 0x3f167918, v43, -v25
	v_fma_f32 v43, 0xbf167918, v37, -v28
	v_dual_add_f32 v28, v36, v39 :: v_dual_mul_f32 v33, 0x3f737871, v53
	v_dual_fmac_f32 v38, 0x3e9e377a, v53 :: v_dual_add_f32 v25, v49, v35
	s_delay_alu instid0(VALU_DEP_3) | instskip(NEXT) | instid1(VALU_DEP_3)
	v_add_f32_e32 v31, v42, v43
	v_dual_sub_f32 v36, v36, v39 :: v_dual_fmac_f32 v33, 0x3e9e377a, v30
	s_delay_alu instid0(VALU_DEP_3) | instskip(SKIP_1) | instid1(VALU_DEP_3)
	v_dual_add_f32 v27, v51, v38 :: v_dual_add_f32 v30, v96, v41
	v_dual_sub_f32 v89, v96, v41 :: v_dual_sub_f32 v90, v42, v43
	v_add_f32_e32 v26, v48, v33
	v_dual_sub_f32 v34, v48, v33 :: v_dual_sub_f32 v33, v49, v35
	v_sub_f32_e32 v35, v51, v38
	v_sub_f32_e32 v37, v50, v40
	ds_store_2addr_b64 v107, v[20:21], v[24:25] offset1:10
	ds_store_2addr_b64 v107, v[26:27], v[28:29] offset0:20 offset1:30
	ds_store_2addr_b64 v107, v[30:31], v[22:23] offset0:40 offset1:50
	ds_store_2addr_b64 v107, v[32:33], v[34:35] offset0:60 offset1:70
	ds_store_2addr_b64 v107, v[36:37], v[89:90] offset0:80 offset1:90
	global_wb scope:SCOPE_SE
	s_wait_dscnt 0x0
	s_barrier_signal -1
	s_barrier_wait -1
	global_inv scope:SCOPE_SE
	ds_load_2addr_b64 v[20:23], v105 offset1:90
	ds_load_2addr_b64 v[36:39], v19 offset0:52 offset1:172
	ds_load_2addr_b64 v[44:47], v18 offset0:88 offset1:178
	;; [unrolled: 1-line block ×3, first 2 shown]
	ds_load_b64 v[48:49], v105 offset:6240
                                        ; implicit-def: $vgpr50
	s_and_saveexec_b32 s0, vcc_lo
	s_cbranch_execz .LBB0_3
; %bb.2:
	ds_load_b64 v[89:90], v105 offset:2160
	ds_load_b64 v[50:51], v105 offset:4560
	;; [unrolled: 1-line block ×3, first 2 shown]
.LBB0_3:
	s_wait_alu 0xfffe
	s_or_b32 exec_lo, exec_lo, s0
	v_add_co_u32 v91, s0, 0x5a, v65
	s_wait_alu 0xf1ff
	v_add_co_ci_u32_e64 v92, null, 0, 0, s0
	v_add_co_u32 v18, s0, v65, -10
	v_lshlrev_b64_e32 v[16:17], 4, v[65:66]
	s_wait_alu 0xf1ff
	v_add_co_ci_u32_e64 v19, null, 0, -1, s0
	v_cmp_gt_u16_e64 s0, 10, v65
	v_add_co_u32 v93, s1, 0xb4, v65
	s_wait_alu 0xf1ff
	v_add_co_ci_u32_e64 v94, null, 0, 0, s1
	s_delay_alu instid0(VALU_DEP_3) | instskip(SKIP_4) | instid1(VALU_DEP_3)
	v_cndmask_b32_e64 v55, v19, v92, s0
	v_cndmask_b32_e64 v54, v18, v91, s0
	v_add_co_u32 v95, s0, s10, v16
	s_wait_alu 0xf1ff
	v_add_co_ci_u32_e64 v96, s0, s11, v17, s0
	v_lshlrev_b64_e32 v[24:25], 4, v[54:55]
	v_add_co_u32 v112, s0, 0x10e, v65
	global_load_b128 v[16:19], v[95:96], off offset:720
	s_wait_alu 0xf1ff
	v_add_co_ci_u32_e64 v113, null, 0, 0, s0
	v_add_co_u32 v24, s0, s10, v24
	v_lshrrev_b16 v26, 2, v93
	s_wait_alu 0xf1ff
	v_add_co_ci_u32_e64 v25, s0, s11, v25, s0
	v_lshrrev_b16 v27, 2, v112
	global_load_b128 v[28:31], v[24:25], off offset:720
	v_and_b32_e32 v26, 0xffff, v26
	v_and_b32_e32 v27, 0xffff, v27
	s_delay_alu instid0(VALU_DEP_2) | instskip(NEXT) | instid1(VALU_DEP_2)
	v_mul_u32_u24_e32 v24, 0x147b, v26
	v_mul_u32_u24_e32 v25, 0x147b, v27
	s_delay_alu instid0(VALU_DEP_2) | instskip(NEXT) | instid1(VALU_DEP_2)
	v_lshrrev_b32_e32 v55, 17, v24
	v_lshrrev_b32_e32 v24, 17, v25
	s_delay_alu instid0(VALU_DEP_2) | instskip(NEXT) | instid1(VALU_DEP_2)
	v_mul_lo_u16 v25, 0x64, v55
	v_mul_lo_u16 v24, 0x64, v24
	s_delay_alu instid0(VALU_DEP_2) | instskip(NEXT) | instid1(VALU_DEP_2)
	v_sub_nc_u16 v56, v93, v25
	v_sub_nc_u16 v57, v112, v24
	s_delay_alu instid0(VALU_DEP_2) | instskip(SKIP_1) | instid1(VALU_DEP_3)
	v_mad_u16 v55, 0x12c, v55, v56
	v_lshlrev_b16 v24, 4, v56
	v_lshlrev_b16 v25, 4, v57
	v_and_b32_e32 v66, 0xffff, v57
	s_delay_alu instid0(VALU_DEP_4) | instskip(NEXT) | instid1(VALU_DEP_4)
	v_and_b32_e32 v55, 0xffff, v55
	v_and_b32_e32 v24, 0xffff, v24
	s_delay_alu instid0(VALU_DEP_2)
	v_lshl_add_u32 v111, v55, 3, v106
	s_wait_loadcnt_dscnt 0x102
	v_mul_f32_e32 v57, v44, v19
	v_mul_f32_e32 v55, v38, v17
	v_and_b32_e32 v26, 0xffff, v25
	v_add_co_u32 v24, s0, s10, v24
	s_wait_alu 0xf1ff
	v_add_co_ci_u32_e64 v25, null, s11, 0, s0
	v_fmac_f32_e32 v55, v39, v16
	v_add_co_u32 v26, s0, s10, v26
	s_wait_alu 0xf1ff
	v_add_co_ci_u32_e64 v27, null, s11, 0, s0
	s_clause 0x1
	global_load_b128 v[32:35], v[24:25], off offset:720
	global_load_b128 v[24:27], v[26:27], off offset:720
	v_cmp_lt_u16_e64 s0, 9, v65
	v_fmac_f32_e32 v57, v45, v18
	s_wait_loadcnt_dscnt 0x201
	v_dual_mul_f32 v56, v45, v19 :: v_dual_mul_f32 v45, v40, v29
	v_add_f32_e32 v61, v21, v55
	s_wait_alu 0xf1ff
	v_cndmask_b32_e64 v58, 0, 0x12c, s0
	v_sub_f32_e32 v60, v55, v57
	v_add_f32_e32 v55, v55, v57
	v_fmac_f32_e32 v45, v41, v28
	global_wb scope:SCOPE_SE
	s_wait_loadcnt_dscnt 0x0
	v_add_nc_u32_e32 v54, v54, v58
	s_barrier_signal -1
	v_fma_f32 v21, -0.5, v55, v21
	s_barrier_wait -1
	global_inv scope:SCOPE_SE
	v_lshl_add_u32 v110, v54, 3, v106
	v_mul_f32_e32 v54, v39, v17
	v_fma_f32 v39, v44, v18, -v56
	v_mul_f32_e32 v44, v41, v29
	v_mul_f32_e32 v56, v46, v31
	s_delay_alu instid0(VALU_DEP_4) | instskip(SKIP_1) | instid1(VALU_DEP_4)
	v_fma_f32 v38, v38, v16, -v54
	v_mul_f32_e32 v54, v47, v31
	v_fma_f32 v44, v40, v28, -v44
	s_delay_alu instid0(VALU_DEP_3) | instskip(SKIP_1) | instid1(VALU_DEP_4)
	v_dual_add_f32 v58, v20, v38 :: v_dual_add_f32 v59, v38, v39
	v_sub_f32_e32 v62, v38, v39
	v_fma_f32 v46, v46, v30, -v54
	s_delay_alu instid0(VALU_DEP_3) | instskip(NEXT) | instid1(VALU_DEP_4)
	v_add_f32_e32 v38, v58, v39
	v_fma_f32 v20, -0.5, v59, v20
	v_dual_add_f32 v39, v61, v57 :: v_dual_fmac_f32 v56, v47, v30
	v_add_f32_e32 v57, v23, v45
	s_delay_alu instid0(VALU_DEP_3) | instskip(SKIP_1) | instid1(VALU_DEP_4)
	v_dual_add_f32 v47, v22, v44 :: v_dual_fmamk_f32 v40, v60, 0x3f5db3d7, v20
	v_fmac_f32_e32 v20, 0xbf5db3d7, v60
	v_sub_f32_e32 v55, v45, v56
	v_dual_fmamk_f32 v41, v62, 0xbf5db3d7, v21 :: v_dual_add_f32 v54, v44, v46
	v_dual_fmac_f32 v21, 0x3f5db3d7, v62 :: v_dual_add_f32 v58, v45, v56
	v_sub_f32_e32 v59, v44, v46
	v_add_f32_e32 v45, v57, v56
	s_delay_alu instid0(VALU_DEP_4) | instskip(SKIP_4) | instid1(VALU_DEP_2)
	v_fma_f32 v22, -0.5, v54, v22
	ds_store_2addr_b64 v105, v[38:39], v[40:41] offset1:100
	ds_store_b64 v105, v[20:21] offset:1600
	v_dual_fmac_f32 v23, -0.5, v58 :: v_dual_fmamk_f32 v20, v55, 0x3f5db3d7, v22
	v_add_f32_e32 v44, v47, v46
	v_dual_fmac_f32 v22, 0xbf5db3d7, v55 :: v_dual_fmamk_f32 v21, v59, 0xbf5db3d7, v23
	v_dual_fmac_f32 v23, 0x3f5db3d7, v59 :: v_dual_mul_f32 v38, v43, v33
	v_mul_f32_e32 v41, v48, v35
	v_dual_mul_f32 v39, v42, v33 :: v_dual_mul_f32 v40, v49, v35
	v_dual_mul_f32 v46, v51, v25 :: v_dual_mul_f32 v55, v52, v27
	;; [unrolled: 1-line block ×3, first 2 shown]
	v_fma_f32 v38, v42, v32, -v38
	s_delay_alu instid0(VALU_DEP_4)
	v_fma_f32 v40, v48, v34, -v40
	v_fmac_f32_e32 v39, v43, v32
	v_fmac_f32_e32 v41, v49, v34
	v_fma_f32 v42, v50, v24, -v46
	v_fma_f32 v43, v52, v26, -v54
	v_dual_add_f32 v48, v38, v40 :: v_dual_fmac_f32 v55, v53, v26
	v_sub_f32_e32 v52, v38, v40
	v_dual_add_f32 v46, v36, v38 :: v_dual_fmac_f32 v47, v51, v24
	v_dual_add_f32 v50, v37, v39 :: v_dual_sub_f32 v49, v39, v41
	v_dual_add_f32 v54, v42, v43 :: v_dual_add_f32 v51, v39, v41
	s_delay_alu instid0(VALU_DEP_3)
	v_dual_add_f32 v53, v89, v42 :: v_dual_sub_f32 v56, v47, v55
	v_fma_f32 v36, -0.5, v48, v36
	v_add_f32_e32 v57, v90, v47
	v_dual_add_f32 v47, v47, v55 :: v_dual_add_f32 v38, v46, v40
	v_sub_f32_e32 v42, v42, v43
	v_fmac_f32_e32 v37, -0.5, v51
	s_delay_alu instid0(VALU_DEP_3)
	v_dual_fmac_f32 v89, -0.5, v54 :: v_dual_fmac_f32 v90, -0.5, v47
	v_add_f32_e32 v97, v53, v43
	v_dual_fmamk_f32 v40, v49, 0x3f5db3d7, v36 :: v_dual_add_f32 v39, v50, v41
	v_add_f32_e32 v98, v57, v55
	v_dual_fmac_f32 v36, 0xbf5db3d7, v49 :: v_dual_fmamk_f32 v41, v52, 0xbf5db3d7, v37
	v_fmac_f32_e32 v37, 0x3f5db3d7, v52
	v_fmamk_f32 v101, v56, 0x3f5db3d7, v89
	v_dual_fmac_f32 v89, 0xbf5db3d7, v56 :: v_dual_fmamk_f32 v102, v42, 0xbf5db3d7, v90
	v_fmac_f32_e32 v90, 0x3f5db3d7, v42
	ds_store_2addr_b64 v110, v[44:45], v[20:21] offset1:100
	ds_store_b64 v110, v[22:23] offset:1600
	ds_store_2addr_b64 v111, v[38:39], v[40:41] offset1:100
	ds_store_b64 v111, v[36:37] offset:1600
	s_and_saveexec_b32 s0, vcc_lo
	s_cbranch_execz .LBB0_5
; %bb.4:
	v_lshl_add_u32 v20, v66, 3, v106
	s_delay_alu instid0(VALU_DEP_1)
	v_add_nc_u32_e32 v21, 0x1000, v20
	ds_store_2addr_b64 v21, v[97:98], v[101:102] offset0:88 offset1:188
	ds_store_b64 v20, v[89:90] offset:6400
.LBB0_5:
	s_wait_alu 0xfffe
	s_or_b32 exec_lo, exec_lo, s0
	v_add_nc_u32_e32 v20, 0x400, v105
	v_add_nc_u32_e32 v21, 0x1000, v105
	;; [unrolled: 1-line block ×3, first 2 shown]
	global_wb scope:SCOPE_SE
	s_wait_dscnt 0x0
	s_barrier_signal -1
	s_barrier_wait -1
	global_inv scope:SCOPE_SE
	ds_load_2addr_b64 v[52:55], v105 offset1:90
	ds_load_2addr_b64 v[48:51], v20 offset0:52 offset1:172
	ds_load_2addr_b64 v[60:63], v21 offset0:88 offset1:178
	;; [unrolled: 1-line block ×3, first 2 shown]
	ds_load_b64 v[103:104], v105 offset:6240
	v_add_co_u32 v99, s0, s8, v108
	s_wait_alu 0xf1ff
	v_add_co_ci_u32_e64 v100, null, s9, 0, s0
	s_and_saveexec_b32 s0, vcc_lo
	s_cbranch_execz .LBB0_7
; %bb.6:
	ds_load_b64 v[97:98], v105 offset:2160
	ds_load_b64 v[101:102], v105 offset:4560
	;; [unrolled: 1-line block ×3, first 2 shown]
.LBB0_7:
	s_wait_alu 0xfffe
	s_or_b32 exec_lo, exec_lo, s0
	v_lshlrev_b64_e32 v[20:21], 4, v[91:92]
	v_lshlrev_b64_e32 v[22:23], 4, v[93:94]
	v_add_co_u32 v91, s0, 0xffffffe2, v65
	s_wait_alu 0xf1ff
	v_add_co_ci_u32_e64 v92, null, 0, -1, s0
	s_delay_alu instid0(VALU_DEP_4)
	v_add_co_u32 v20, s0, s10, v20
	s_wait_alu 0xf1ff
	v_add_co_ci_u32_e64 v21, s0, s11, v21, s0
	v_add_co_u32 v22, s0, s10, v22
	s_wait_alu 0xf1ff
	v_add_co_ci_u32_e64 v23, s0, s11, v23, s0
	s_clause 0x2
	global_load_b128 v[36:39], v[95:96], off offset:2320
	global_load_b128 v[44:47], v[20:21], off offset:2320
	;; [unrolled: 1-line block ×3, first 2 shown]
	v_dual_cndmask_b32 v21, v92, v113 :: v_dual_cndmask_b32 v20, v91, v112
	s_delay_alu instid0(VALU_DEP_1) | instskip(NEXT) | instid1(VALU_DEP_1)
	v_lshlrev_b64_e32 v[20:21], 4, v[20:21]
	v_add_co_u32 v20, s0, s10, v20
	s_wait_alu 0xf1ff
	s_delay_alu instid0(VALU_DEP_2)
	v_add_co_ci_u32_e64 v21, s0, s11, v21, s0
	global_load_b128 v[20:23], v[20:21], off offset:2320
	s_wait_loadcnt_dscnt 0x302
	v_dual_mul_f32 v91, v51, v37 :: v_dual_mul_f32 v94, v60, v39
	v_dual_mul_f32 v92, v50, v37 :: v_dual_mul_f32 v93, v61, v39
	s_wait_loadcnt_dscnt 0x201
	v_dual_mul_f32 v114, v57, v45 :: v_dual_mul_f32 v117, v62, v47
	s_delay_alu instid0(VALU_DEP_3) | instskip(NEXT) | instid1(VALU_DEP_3)
	v_fma_f32 v50, v50, v36, -v91
	v_fmac_f32_e32 v92, v51, v36
	v_fma_f32 v51, v60, v38, -v93
	v_dual_fmac_f32 v94, v61, v38 :: v_dual_mul_f32 v115, v56, v45
	s_delay_alu instid0(VALU_DEP_4) | instskip(NEXT) | instid1(VALU_DEP_3)
	v_dual_mul_f32 v116, v63, v47 :: v_dual_add_f32 v61, v52, v50
	v_add_f32_e32 v93, v50, v51
	s_delay_alu instid0(VALU_DEP_3)
	v_dual_sub_f32 v95, v92, v94 :: v_dual_add_f32 v96, v53, v92
	v_dual_add_f32 v112, v92, v94 :: v_dual_sub_f32 v113, v50, v51
	s_wait_loadcnt 0x1
	v_dual_mul_f32 v118, v59, v41 :: v_dual_add_f32 v91, v61, v51
	s_wait_dscnt 0x0
	v_dual_mul_f32 v119, v58, v41 :: v_dual_mul_f32 v120, v104, v43
	v_dual_mul_f32 v121, v103, v43 :: v_dual_add_f32 v92, v96, v94
	v_fma_f32 v50, -0.5, v93, v52
	v_fma_f32 v61, v56, v44, -v114
	v_fma_f32 v62, v62, v46, -v116
	v_fma_f32 v51, -0.5, v112, v53
	s_delay_alu instid0(VALU_DEP_4)
	v_dual_fmac_f32 v115, v57, v44 :: v_dual_fmamk_f32 v52, v95, 0x3f5db3d7, v50
	v_dual_fmac_f32 v117, v63, v46 :: v_dual_fmac_f32 v50, 0xbf5db3d7, v95
	s_wait_loadcnt 0x0
	v_dual_fmac_f32 v119, v59, v40 :: v_dual_mul_f32 v56, v89, v23
	v_dual_fmac_f32 v121, v104, v42 :: v_dual_add_f32 v94, v54, v61
	v_add_f32_e32 v95, v61, v62
	v_lshl_add_u32 v60, v65, 3, v106
	v_fma_f32 v58, v58, v40, -v118
	s_delay_alu instid0(VALU_DEP_4)
	v_sub_f32_e32 v114, v119, v121
	v_fma_f32 v63, v103, v42, -v120
	v_dual_fmamk_f32 v53, v113, 0xbf5db3d7, v51 :: v_dual_sub_f32 v96, v115, v117
	v_dual_mul_f32 v93, v90, v23 :: v_dual_add_f32 v104, v115, v117
	v_fma_f32 v54, -0.5, v95, v54
	v_mul_f32_e32 v59, v102, v21
	v_dual_fmac_f32 v51, 0x3f5db3d7, v113 :: v_dual_sub_f32 v112, v61, v62
	v_dual_mul_f32 v57, v101, v21 :: v_dual_sub_f32 v118, v58, v63
	v_dual_add_f32 v103, v55, v115 :: v_dual_fmac_f32 v56, v90, v22
	v_dual_add_f32 v61, v48, v58 :: v_dual_add_f32 v116, v119, v121
	v_add_f32_e32 v115, v49, v119
	ds_store_b64 v60, v[52:53] offset:2400
	ds_store_b64 v60, v[50:51] offset:4800
	v_add_f32_e32 v52, v94, v62
	v_add_f32_e32 v113, v58, v63
	v_fma_f32 v58, v101, v20, -v59
	v_add_f32_e32 v62, v115, v121
	v_fma_f32 v59, v89, v22, -v93
	v_fmac_f32_e32 v55, -0.5, v104
	v_fma_f32 v48, -0.5, v113, v48
	v_fmac_f32_e32 v57, v102, v20
	s_delay_alu instid0(VALU_DEP_4) | instskip(NEXT) | instid1(VALU_DEP_4)
	v_dual_fmamk_f32 v89, v96, 0x3f5db3d7, v54 :: v_dual_add_f32 v50, v58, v59
	v_dual_add_f32 v53, v103, v117 :: v_dual_fmamk_f32 v90, v112, 0xbf5db3d7, v55
	s_delay_alu instid0(VALU_DEP_4) | instskip(SKIP_1) | instid1(VALU_DEP_4)
	v_fmamk_f32 v93, v114, 0x3f5db3d7, v48
	v_fmac_f32_e32 v48, 0xbf5db3d7, v114
	v_fma_f32 v50, -0.5, v50, v97
	v_fmac_f32_e32 v49, -0.5, v116
	v_add_f32_e32 v61, v61, v63
	v_sub_f32_e32 v63, v57, v56
	v_add_f32_e32 v51, v57, v56
	v_sub_f32_e32 v95, v58, v59
	ds_store_2addr_b64 v105, v[91:92], v[52:53] offset1:90
	v_fmac_f32_e32 v54, 0xbf5db3d7, v96
	v_fmamk_f32 v52, v63, 0x3f5db3d7, v50
	v_fmac_f32_e32 v50, 0xbf5db3d7, v63
	v_fma_f32 v51, -0.5, v51, v98
	v_fmac_f32_e32 v55, 0x3f5db3d7, v112
	v_fmamk_f32 v94, v118, 0xbf5db3d7, v49
	v_fmac_f32_e32 v49, 0x3f5db3d7, v118
	ds_store_b64 v60, v[89:90] offset:3120
	ds_store_b64 v60, v[54:55] offset:5520
	;; [unrolled: 1-line block ×5, first 2 shown]
	v_fmamk_f32 v53, v95, 0xbf5db3d7, v51
	v_fmac_f32_e32 v51, 0x3f5db3d7, v95
	s_and_saveexec_b32 s0, vcc_lo
	s_cbranch_execz .LBB0_9
; %bb.8:
	v_add_f32_e32 v48, v98, v57
	s_delay_alu instid0(VALU_DEP_1) | instskip(NEXT) | instid1(VALU_DEP_1)
	v_dual_add_f32 v54, v97, v58 :: v_dual_add_f32 v49, v48, v56
	v_add_f32_e32 v48, v54, v59
	ds_store_b64 v105, v[48:49] offset:2160
	ds_store_b64 v60, v[52:53] offset:4560
	;; [unrolled: 1-line block ×3, first 2 shown]
.LBB0_9:
	s_wait_alu 0xfffe
	s_or_b32 exec_lo, exec_lo, s0
	s_add_nc_u64 s[0:1], s[8:9], 0x1c20
	global_wb scope:SCOPE_SE
	s_wait_dscnt 0x0
	s_barrier_signal -1
	s_barrier_wait -1
	global_inv scope:SCOPE_SE
	s_clause 0x9
	global_load_b64 v[48:49], v[99:100], off offset:7200
	global_load_b64 v[57:58], v108, s[0:1] offset:720
	global_load_b64 v[61:62], v108, s[0:1] offset:1440
	;; [unrolled: 1-line block ×9, first 2 shown]
	ds_load_2addr_b64 v[89:92], v105 offset1:90
	v_add_nc_u32_e32 v55, 0x400, v105
	v_add_nc_u32_e32 v54, 0x800, v105
	s_wait_loadcnt_dscnt 0x800
	v_dual_mul_f32 v59, v89, v49 :: v_dual_mul_f32 v132, v92, v58
	ds_load_2addr_b64 v[93:96], v55 offset0:52 offset1:142
	v_add_nc_u32_e32 v56, 0x1000, v105
	v_dual_fmac_f32 v59, v90, v48 :: v_dual_add_nc_u32 v108, 0x1400, v105
	s_wait_loadcnt_dscnt 0x600
	v_mul_f32_e32 v130, v95, v117
	v_mul_f32_e32 v131, v90, v49
	;; [unrolled: 1-line block ×3, first 2 shown]
	ds_load_2addr_b64 v[97:100], v54 offset0:104 offset1:194
	v_mul_f32_e32 v133, v94, v62
	v_mul_f32_e32 v63, v93, v62
	ds_load_2addr_b64 v[101:104], v56 offset0:28 offset1:118
	ds_load_2addr_b64 v[112:115], v108 offset0:80 offset1:170
	v_mul_f32_e32 v134, v96, v117
	v_fmac_f32_e32 v49, v92, v57
	v_fma_f32 v62, v93, v61, -v133
	v_fmac_f32_e32 v63, v94, v61
	s_wait_loadcnt_dscnt 0x502
	v_mul_f32_e32 v135, v98, v119
	s_wait_loadcnt 0x4
	v_dual_mul_f32 v117, v97, v119 :: v_dual_mul_f32 v136, v100, v121
	s_wait_loadcnt_dscnt 0x301
	v_mul_f32_e32 v137, v102, v123
	v_mul_f32_e32 v119, v99, v121
	s_wait_loadcnt 0x2
	v_dual_mul_f32 v121, v101, v123 :: v_dual_mul_f32 v138, v104, v125
	v_mul_f32_e32 v123, v103, v125
	s_wait_loadcnt_dscnt 0x0
	v_dual_mul_f32 v139, v113, v127 :: v_dual_mul_f32 v140, v115, v129
	v_mul_f32_e32 v125, v112, v127
	v_dual_mul_f32 v127, v114, v129 :: v_dual_fmac_f32 v130, v96, v116
	v_fma_f32 v58, v89, v48, -v131
	v_fma_f32 v48, v91, v57, -v132
	v_fma_f32 v129, v95, v116, -v134
	v_fma_f32 v116, v97, v118, -v135
	v_fmac_f32_e32 v117, v98, v118
	v_fma_f32 v118, v99, v120, -v136
	v_fmac_f32_e32 v119, v100, v120
	v_fma_f32 v120, v101, v122, -v137
	;; [unrolled: 2-line block ×5, first 2 shown]
	v_fmac_f32_e32 v127, v115, v128
	ds_store_2addr_b64 v105, v[58:59], v[48:49] offset1:90
	ds_store_2addr_b64 v55, v[62:63], v[129:130] offset0:52 offset1:142
	ds_store_2addr_b64 v54, v[116:117], v[118:119] offset0:104 offset1:194
	;; [unrolled: 1-line block ×4, first 2 shown]
	global_wb scope:SCOPE_SE
	s_wait_dscnt 0x0
	s_barrier_signal -1
	s_barrier_wait -1
	global_inv scope:SCOPE_SE
	ds_load_2addr_b64 v[89:92], v105 offset1:90
	ds_load_2addr_b64 v[93:96], v55 offset0:52 offset1:142
	ds_load_2addr_b64 v[97:100], v54 offset0:104 offset1:194
	ds_load_2addr_b64 v[101:104], v56 offset0:28 offset1:118
	ds_load_2addr_b64 v[112:115], v108 offset0:80 offset1:170
	global_wb scope:SCOPE_SE
	s_wait_dscnt 0x0
	s_barrier_signal -1
	s_barrier_wait -1
	global_inv scope:SCOPE_SE
	v_add_f32_e32 v48, v89, v93
	v_sub_f32_e32 v59, v93, v97
	v_dual_add_f32 v49, v97, v101 :: v_dual_add_f32 v130, v95, v114
	v_dual_add_f32 v138, v96, v115 :: v_dual_sub_f32 v119, v97, v101
	v_add_f32_e32 v133, v92, v96
	v_dual_sub_f32 v57, v94, v113 :: v_dual_sub_f32 v132, v103, v114
	v_add_f32_e32 v62, v93, v112
	v_dual_sub_f32 v116, v101, v112 :: v_dual_add_f32 v117, v90, v94
	v_add_f32_e32 v48, v48, v97
	v_add_f32_e32 v118, v98, v102
	v_sub_f32_e32 v120, v94, v98
	v_add_f32_e32 v122, v94, v113
	v_sub_f32_e32 v94, v98, v94
	v_dual_sub_f32 v123, v102, v113 :: v_dual_add_f32 v124, v91, v95
	v_sub_f32_e32 v126, v96, v115
	v_sub_f32_e32 v127, v100, v104
	v_add_f32_e32 v134, v100, v104
	v_sub_f32_e32 v136, v96, v100
	v_sub_f32_e32 v96, v100, v96
	v_add_f32_e32 v100, v133, v100
	v_sub_f32_e32 v63, v97, v93
	v_dual_sub_f32 v61, v112, v101 :: v_dual_sub_f32 v58, v98, v102
	v_dual_sub_f32 v93, v93, v112 :: v_dual_sub_f32 v128, v95, v99
	v_dual_sub_f32 v129, v114, v103 :: v_dual_add_f32 v48, v48, v101
	v_sub_f32_e32 v121, v113, v102
	v_dual_sub_f32 v135, v99, v103 :: v_dual_add_f32 v100, v100, v104
	v_fma_f32 v49, -0.5, v49, v89
	v_add_f32_e32 v59, v59, v61
	v_fma_f32 v61, -0.5, v62, v89
	v_add_f32_e32 v62, v63, v116
	v_fma_f32 v116, -0.5, v118, v90
	v_fma_f32 v118, -0.5, v134, v92
	v_fmac_f32_e32 v92, -0.5, v138
	v_add_f32_e32 v63, v117, v98
	v_fma_f32 v117, -0.5, v122, v90
	v_add_f32_e32 v90, v94, v123
	v_add_f32_e32 v94, v124, v99
	v_fmamk_f32 v124, v135, 0xbf737871, v92
	v_sub_f32_e32 v131, v99, v95
	v_sub_f32_e32 v137, v115, v104
	;; [unrolled: 1-line block ×3, first 2 shown]
	v_dual_sub_f32 v95, v95, v114 :: v_dual_add_f32 v98, v128, v129
	v_dual_add_f32 v89, v120, v121 :: v_dual_fmac_f32 v92, 0x3f737871, v135
	v_dual_fmamk_f32 v101, v57, 0xbf737871, v49 :: v_dual_add_f32 v48, v48, v112
	v_fmamk_f32 v121, v58, 0x3f737871, v61
	v_dual_add_f32 v63, v63, v102 :: v_dual_fmamk_f32 v102, v93, 0x3f737871, v116
	v_fmac_f32_e32 v116, 0xbf737871, v93
	v_add_f32_e32 v94, v94, v103
	v_dual_add_f32 v125, v99, v103 :: v_dual_add_f32 v120, v136, v137
	v_fmac_f32_e32 v49, 0x3f737871, v57
	v_dual_add_f32 v99, v131, v132 :: v_dual_fmac_f32 v102, 0x3f167918, v119
	s_delay_alu instid0(VALU_DEP_3)
	v_fma_f32 v97, -0.5, v125, v91
	v_dual_add_f32 v96, v96, v139 :: v_dual_fmac_f32 v61, 0xbf737871, v58
	v_fmamk_f32 v122, v119, 0xbf737871, v117
	v_fmamk_f32 v104, v95, 0x3f737871, v118
	v_fmac_f32_e32 v118, 0xbf737871, v95
	v_fmac_f32_e32 v101, 0xbf167918, v58
	s_delay_alu instid0(VALU_DEP_4)
	v_dual_fmac_f32 v49, 0x3f167918, v58 :: v_dual_fmac_f32 v122, 0x3f167918, v93
	v_dual_fmac_f32 v121, 0xbf167918, v57 :: v_dual_fmac_f32 v92, 0xbf167918, v95
	v_fmac_f32_e32 v116, 0xbf167918, v119
	v_dual_add_f32 v58, v94, v114 :: v_dual_fmac_f32 v61, 0x3f167918, v57
	v_dual_fmac_f32 v104, 0x3f167918, v135 :: v_dual_add_f32 v57, v63, v113
	v_fmac_f32_e32 v124, 0x3f167918, v95
	v_dual_add_f32 v63, v100, v115 :: v_dual_fmac_f32 v102, 0x3e9e377a, v89
	v_fmac_f32_e32 v118, 0xbf167918, v135
	v_dual_fmac_f32 v101, 0x3e9e377a, v59 :: v_dual_fmac_f32 v116, 0x3e9e377a, v89
	v_dual_fmac_f32 v92, 0x3e9e377a, v96 :: v_dual_add_f32 v89, v48, v58
	v_fmamk_f32 v103, v126, 0xbf737871, v97
	v_sub_f32_e32 v95, v48, v58
	v_dual_fmac_f32 v49, 0x3e9e377a, v59 :: v_dual_fmac_f32 v122, 0x3e9e377a, v90
	s_delay_alu instid0(VALU_DEP_4) | instskip(NEXT) | instid1(VALU_DEP_4)
	v_mul_f32_e32 v58, 0xbf737871, v92
	v_fmac_f32_e32 v103, 0xbf167918, v127
	v_dual_fmac_f32 v121, 0x3e9e377a, v62 :: v_dual_fmac_f32 v104, 0x3e9e377a, v120
	v_dual_fmac_f32 v61, 0x3e9e377a, v62 :: v_dual_fmac_f32 v118, 0x3e9e377a, v120
	s_delay_alu instid0(VALU_DEP_3)
	v_fmac_f32_e32 v103, 0x3e9e377a, v98
	v_fma_f32 v91, -0.5, v130, v91
	v_mul_f32_e32 v113, 0xbe9e377a, v92
	v_fmac_f32_e32 v124, 0x3e9e377a, v96
	v_mul_f32_e32 v48, 0xbf167918, v104
	v_mul_f32_e32 v62, 0x3f167918, v103
	v_dual_sub_f32 v96, v57, v63 :: v_dual_mul_f32 v59, 0xbf167918, v118
	v_mul_f32_e32 v115, 0xbf4f1bbd, v118
	s_delay_alu instid0(VALU_DEP_3) | instskip(NEXT) | instid1(VALU_DEP_1)
	v_fmac_f32_e32 v62, 0x3f4f1bbd, v104
	v_dual_fmac_f32 v117, 0x3f737871, v119 :: v_dual_add_f32 v92, v102, v62
	s_delay_alu instid0(VALU_DEP_1) | instskip(NEXT) | instid1(VALU_DEP_1)
	v_fmac_f32_e32 v117, 0xbf167918, v93
	v_fmac_f32_e32 v117, 0x3e9e377a, v90
	v_fmamk_f32 v123, v127, 0x3f737871, v91
	v_fmac_f32_e32 v91, 0xbf737871, v127
	v_dual_add_f32 v90, v57, v63 :: v_dual_mul_f32 v63, 0x3e9e377a, v124
	v_mul_f32_e32 v57, 0xbf737871, v124
	s_delay_alu instid0(VALU_DEP_3) | instskip(NEXT) | instid1(VALU_DEP_1)
	v_fmac_f32_e32 v91, 0x3f167918, v126
	v_fmac_f32_e32 v91, 0x3e9e377a, v99
	s_delay_alu instid0(VALU_DEP_1) | instskip(NEXT) | instid1(VALU_DEP_1)
	v_fmac_f32_e32 v58, 0xbe9e377a, v91
	v_dual_fmac_f32 v113, 0x3f737871, v91 :: v_dual_sub_f32 v112, v61, v58
	s_delay_alu instid0(VALU_DEP_1) | instskip(SKIP_1) | instid1(VALU_DEP_2)
	v_dual_add_f32 v100, v117, v113 :: v_dual_fmac_f32 v123, 0xbf167918, v126
	v_sub_f32_e32 v113, v117, v113
	v_fmac_f32_e32 v123, 0x3e9e377a, v99
	v_add_f32_e32 v99, v61, v58
	s_delay_alu instid0(VALU_DEP_2) | instskip(SKIP_2) | instid1(VALU_DEP_3)
	v_dual_sub_f32 v102, v102, v62 :: v_dual_fmac_f32 v63, 0x3f737871, v123
	v_fmac_f32_e32 v97, 0x3f737871, v126
	v_fmac_f32_e32 v57, 0x3e9e377a, v123
	v_sub_f32_e32 v104, v122, v63
	s_delay_alu instid0(VALU_DEP_3) | instskip(NEXT) | instid1(VALU_DEP_3)
	v_fmac_f32_e32 v97, 0x3f167918, v127
	v_dual_fmac_f32 v48, 0x3f4f1bbd, v103 :: v_dual_sub_f32 v103, v121, v57
	s_delay_alu instid0(VALU_DEP_2) | instskip(NEXT) | instid1(VALU_DEP_1)
	v_dual_fmac_f32 v97, 0x3e9e377a, v98 :: v_dual_add_f32 v98, v122, v63
	v_fmac_f32_e32 v59, 0xbf4f1bbd, v97
	v_fmac_f32_e32 v115, 0x3f167918, v97
	v_add_f32_e32 v97, v121, v57
	v_add_f32_e32 v91, v101, v48
	v_sub_f32_e32 v101, v101, v48
	v_add_f32_e32 v93, v49, v59
	v_add_f32_e32 v94, v116, v115
	v_sub_f32_e32 v114, v49, v59
	v_sub_f32_e32 v115, v116, v115
	ds_store_b128 v109, v[89:92]
	ds_store_b128 v109, v[97:100] offset:16
	ds_store_b128 v109, v[93:96] offset:32
	;; [unrolled: 1-line block ×4, first 2 shown]
	global_wb scope:SCOPE_SE
	s_wait_dscnt 0x0
	s_barrier_signal -1
	s_barrier_wait -1
	global_inv scope:SCOPE_SE
	ds_load_2addr_b64 v[89:92], v105 offset1:90
	ds_load_2addr_b64 v[93:96], v55 offset0:52 offset1:142
	ds_load_2addr_b64 v[97:100], v54 offset0:104 offset1:194
	;; [unrolled: 1-line block ×4, first 2 shown]
	global_wb scope:SCOPE_SE
	s_wait_dscnt 0x0
	s_barrier_signal -1
	s_barrier_wait -1
	global_inv scope:SCOPE_SE
	v_mul_f32_e32 v48, v13, v92
	v_dual_mul_f32 v57, v9, v96 :: v_dual_mul_f32 v58, v11, v98
	v_mul_f32_e32 v62, v1, v104
	v_mul_f32_e32 v108, v88, v115
	;; [unrolled: 1-line block ×3, first 2 shown]
	s_delay_alu instid0(VALU_DEP_4) | instskip(SKIP_1) | instid1(VALU_DEP_4)
	v_fmac_f32_e32 v57, v8, v95
	v_dual_mul_f32 v59, v5, v100 :: v_dual_fmac_f32 v48, v12, v91
	v_fmac_f32_e32 v108, v87, v114
	v_dual_mul_f32 v11, v11, v97 :: v_dual_fmac_f32 v62, v0, v103
	v_fma_f32 v0, v0, v104, -v1
	s_delay_alu instid0(VALU_DEP_3) | instskip(SKIP_1) | instid1(VALU_DEP_4)
	v_dual_fmac_f32 v59, v4, v99 :: v_dual_add_f32 v104, v57, v108
	v_mul_f32_e32 v5, v5, v99
	v_sub_f32_e32 v103, v108, v62
	v_mul_f32_e32 v88, v88, v114
	v_fmac_f32_e32 v58, v10, v97
	s_delay_alu instid0(VALU_DEP_4) | instskip(SKIP_1) | instid1(VALU_DEP_2)
	v_fma_f32 v4, v4, v100, -v5
	v_mul_f32_e32 v9, v9, v95
	v_dual_mul_f32 v63, v3, v113 :: v_dual_add_f32 v114, v4, v0
	s_delay_alu instid0(VALU_DEP_2) | instskip(SKIP_3) | instid1(VALU_DEP_4)
	v_fma_f32 v8, v8, v96, -v9
	v_mul_f32_e32 v13, v13, v91
	v_fma_f32 v9, v10, v98, -v11
	v_mul_f32_e32 v49, v15, v94
	v_dual_mul_f32 v15, v15, v93 :: v_dual_sub_f32 v116, v8, v4
	s_delay_alu instid0(VALU_DEP_4) | instskip(SKIP_1) | instid1(VALU_DEP_1)
	v_fma_f32 v12, v12, v92, -v13
	v_mul_f32_e32 v3, v3, v112
	v_fma_f32 v1, v2, v113, -v3
	v_mul_f32_e32 v61, v7, v102
	v_mul_f32_e32 v7, v7, v101
	v_add_f32_e32 v113, v12, v8
	s_delay_alu instid0(VALU_DEP_2) | instskip(SKIP_2) | instid1(VALU_DEP_3)
	v_fma_f32 v5, v6, v102, -v7
	v_sub_f32_e32 v102, v57, v59
	v_fma_f32 v13, v14, v94, -v15
	v_add_f32_e32 v92, v9, v5
	v_sub_f32_e32 v10, v9, v5
	s_delay_alu instid0(VALU_DEP_3)
	v_sub_f32_e32 v7, v13, v1
	v_add_f32_e32 v96, v13, v1
	v_fmac_f32_e32 v61, v6, v101
	v_sub_f32_e32 v101, v4, v0
	v_fmac_f32_e32 v63, v2, v112
	v_fma_f32 v2, v87, v115, -v88
	v_sub_f32_e32 v94, v13, v9
	v_dual_add_f32 v6, v58, v61 :: v_dual_sub_f32 v115, v59, v62
	s_delay_alu instid0(VALU_DEP_4) | instskip(NEXT) | instid1(VALU_DEP_4)
	v_sub_f32_e32 v88, v61, v63
	v_sub_f32_e32 v100, v8, v2
	v_add_f32_e32 v118, v8, v2
	v_sub_f32_e32 v8, v4, v8
	v_sub_f32_e32 v119, v0, v2
	v_fmac_f32_e32 v49, v14, v93
	v_sub_f32_e32 v14, v63, v61
	v_dual_add_f32 v4, v113, v4 :: v_dual_sub_f32 v93, v58, v61
	s_delay_alu instid0(VALU_DEP_3)
	v_dual_add_f32 v8, v8, v119 :: v_dual_add_f32 v3, v89, v49
	v_sub_f32_e32 v11, v49, v58
	v_sub_f32_e32 v87, v58, v49
	;; [unrolled: 1-line block ×4, first 2 shown]
	v_dual_add_f32 v0, v4, v0 :: v_dual_add_f32 v3, v3, v58
	v_fma_f32 v58, -0.5, v6, v89
	v_add_f32_e32 v6, v11, v14
	v_add_f32_e32 v11, v87, v88
	v_fma_f32 v87, -0.5, v92, v90
	v_add_f32_e32 v91, v90, v13
	v_sub_f32_e32 v13, v9, v13
	v_fma_f32 v88, -0.5, v96, v90
	v_fma_f32 v92, -0.5, v114, v12
	v_dual_fmac_f32 v12, -0.5, v118 :: v_dual_add_f32 v3, v3, v61
	s_delay_alu instid0(VALU_DEP_4) | instskip(NEXT) | instid1(VALU_DEP_4)
	v_add_f32_e32 v13, v13, v97
	v_fmamk_f32 v97, v93, 0xbf737871, v88
	v_fmac_f32_e32 v88, 0x3f737871, v93
	v_add_f32_e32 v98, v48, v57
	v_sub_f32_e32 v109, v59, v57
	v_sub_f32_e32 v57, v57, v108
	v_add_f32_e32 v99, v59, v62
	v_sub_f32_e32 v95, v1, v5
	v_dual_add_f32 v59, v98, v59 :: v_dual_fmamk_f32 v98, v115, 0xbf737871, v12
	v_fmamk_f32 v61, v7, 0xbf737871, v58
	v_fmac_f32_e32 v58, 0x3f737871, v7
	v_add_f32_e32 v15, v49, v63
	v_fmamk_f32 v4, v57, 0x3f737871, v92
	v_fmac_f32_e32 v92, 0xbf737871, v57
	v_sub_f32_e32 v112, v62, v108
	v_fmac_f32_e32 v58, 0x3f167918, v10
	v_fma_f32 v15, -0.5, v15, v89
	v_fma_f32 v89, -0.5, v99, v48
	v_fmac_f32_e32 v48, -0.5, v104
	v_dual_fmac_f32 v92, 0xbf167918, v115 :: v_dual_add_f32 v9, v91, v9
	v_fmac_f32_e32 v12, 0x3f737871, v115
	v_fmac_f32_e32 v58, 0x3e9e377a, v6
	;; [unrolled: 1-line block ×3, first 2 shown]
	s_delay_alu instid0(VALU_DEP_4) | instskip(SKIP_4) | instid1(VALU_DEP_4)
	v_add_f32_e32 v5, v9, v5
	v_dual_add_f32 v9, v59, v62 :: v_dual_fmamk_f32 v62, v101, 0x3f737871, v48
	v_dual_fmac_f32 v48, 0xbf737871, v101 :: v_dual_sub_f32 v49, v49, v63
	v_add_f32_e32 v3, v3, v63
	v_fmac_f32_e32 v61, 0x3e9e377a, v6
	v_fmac_f32_e32 v62, 0xbf167918, v100
	v_add_f32_e32 v14, v94, v95
	v_fmamk_f32 v96, v49, 0x3f737871, v87
	v_fmamk_f32 v95, v10, 0x3f737871, v15
	v_fmac_f32_e32 v15, 0xbf737871, v10
	v_fmamk_f32 v59, v100, 0xbf737871, v89
	v_fmac_f32_e32 v48, 0x3f167918, v100
	v_fmac_f32_e32 v96, 0x3f167918, v93
	;; [unrolled: 1-line block ×9, first 2 shown]
	v_add_f32_e32 v90, v102, v103
	s_delay_alu instid0(VALU_DEP_3)
	v_fmac_f32_e32 v12, 0x3e9e377a, v8
	v_fmac_f32_e32 v88, 0x3e9e377a, v13
	;; [unrolled: 1-line block ×3, first 2 shown]
	v_add_f32_e32 v7, v9, v108
	v_add_f32_e32 v91, v109, v112
	v_dual_add_f32 v9, v0, v2 :: v_dual_fmac_f32 v4, 0x3f167918, v115
	v_fmac_f32_e32 v98, 0x3e9e377a, v8
	s_delay_alu instid0(VALU_DEP_4) | instskip(NEXT) | instid1(VALU_DEP_4)
	v_add_f32_e32 v0, v3, v7
	v_fmac_f32_e32 v62, 0x3e9e377a, v91
	v_add_f32_e32 v94, v116, v117
	v_fmac_f32_e32 v97, 0x3e9e377a, v13
	v_dual_fmac_f32 v59, 0x3e9e377a, v90 :: v_dual_fmac_f32 v48, 0x3e9e377a, v91
	v_mul_f32_e32 v91, 0x3e9e377a, v98
	s_delay_alu instid0(VALU_DEP_4) | instskip(SKIP_3) | instid1(VALU_DEP_4)
	v_dual_fmac_f32 v4, 0x3e9e377a, v94 :: v_dual_fmac_f32 v95, 0x3e9e377a, v11
	v_fmac_f32_e32 v87, 0xbf737871, v49
	v_fmac_f32_e32 v92, 0x3e9e377a, v94
	v_mul_f32_e32 v49, 0xbf737871, v12
	v_mul_f32_e32 v13, 0xbf167918, v4
	v_fmac_f32_e32 v91, 0x3f737871, v62
	v_fmac_f32_e32 v87, 0xbf167918, v93
	v_mul_f32_e32 v63, 0xbf167918, v92
	v_mul_f32_e32 v93, 0xbe9e377a, v12
	v_dual_mul_f32 v92, 0xbf4f1bbd, v92 :: v_dual_add_f32 v5, v5, v1
	s_delay_alu instid0(VALU_DEP_4) | instskip(SKIP_4) | instid1(VALU_DEP_4)
	v_fmac_f32_e32 v87, 0x3e9e377a, v14
	v_mul_f32_e32 v14, 0xbf737871, v98
	v_fmac_f32_e32 v13, 0x3f4f1bbd, v59
	v_fmac_f32_e32 v49, 0xbe9e377a, v48
	;; [unrolled: 1-line block ×3, first 2 shown]
	v_dual_add_f32 v1, v5, v9 :: v_dual_fmac_f32 v14, 0x3e9e377a, v62
	v_dual_fmac_f32 v89, 0x3f737871, v100 :: v_dual_sub_f32 v2, v3, v7
	v_sub_f32_e32 v3, v5, v9
	s_delay_alu instid0(VALU_DEP_3) | instskip(NEXT) | instid1(VALU_DEP_3)
	v_dual_add_f32 v7, v97, v91 :: v_dual_add_f32 v6, v95, v14
	v_dual_sub_f32 v14, v95, v14 :: v_dual_fmac_f32 v89, 0x3f167918, v101
	v_add_f32_e32 v9, v88, v93
	s_delay_alu instid0(VALU_DEP_2) | instskip(SKIP_2) | instid1(VALU_DEP_3)
	v_dual_sub_f32 v12, v61, v13 :: v_dual_fmac_f32 v89, 0x3e9e377a, v90
	v_mul_f32_e32 v90, 0x3f4f1bbd, v4
	v_add_f32_e32 v4, v61, v13
	v_fmac_f32_e32 v92, 0x3f167918, v89
	s_delay_alu instid0(VALU_DEP_3) | instskip(SKIP_2) | instid1(VALU_DEP_4)
	v_fmac_f32_e32 v90, 0x3f167918, v59
	v_fmac_f32_e32 v15, 0x3e9e377a, v11
	;; [unrolled: 1-line block ×3, first 2 shown]
	v_add_f32_e32 v11, v87, v92
	s_delay_alu instid0(VALU_DEP_3) | instskip(NEXT) | instid1(VALU_DEP_3)
	v_dual_add_f32 v5, v96, v90 :: v_dual_add_f32 v8, v15, v49
	v_dual_add_f32 v10, v58, v63 :: v_dual_sub_f32 v57, v15, v49
	v_sub_f32_e32 v13, v96, v90
	v_sub_f32_e32 v15, v97, v91
	;; [unrolled: 1-line block ×3, first 2 shown]
	v_dual_sub_f32 v58, v88, v93 :: v_dual_sub_f32 v49, v87, v92
	ds_store_2addr_b64 v107, v[0:1], v[4:5] offset1:10
	ds_store_2addr_b64 v107, v[6:7], v[8:9] offset0:20 offset1:30
	ds_store_2addr_b64 v107, v[10:11], v[2:3] offset0:40 offset1:50
	;; [unrolled: 1-line block ×4, first 2 shown]
	global_wb scope:SCOPE_SE
	s_wait_dscnt 0x0
	s_barrier_signal -1
	s_barrier_wait -1
	global_inv scope:SCOPE_SE
	ds_load_2addr_b64 v[4:7], v105 offset1:90
	ds_load_2addr_b64 v[0:3], v55 offset0:52 offset1:172
	ds_load_2addr_b64 v[12:15], v56 offset0:88 offset1:178
	;; [unrolled: 1-line block ×3, first 2 shown]
	ds_load_b64 v[54:55], v105 offset:6240
	s_and_saveexec_b32 s0, vcc_lo
	s_cbranch_execz .LBB0_11
; %bb.10:
	ds_load_b64 v[48:49], v105 offset:2160
	ds_load_b64 v[52:53], v105 offset:4560
	;; [unrolled: 1-line block ×3, first 2 shown]
.LBB0_11:
	s_wait_alu 0xfffe
	s_or_b32 exec_lo, exec_lo, s0
	s_wait_dscnt 0x2
	v_dual_mul_f32 v56, v17, v3 :: v_dual_mul_f32 v57, v19, v13
	v_mul_f32_e32 v17, v17, v2
	v_mul_f32_e32 v19, v19, v12
	global_wb scope:SCOPE_SE
	s_wait_dscnt 0x0
	v_dual_fmac_f32 v56, v16, v2 :: v_dual_fmac_f32 v57, v18, v12
	v_fma_f32 v3, v16, v3, -v17
	v_mul_f32_e32 v16, v29, v9
	v_mul_f32_e32 v2, v29, v8
	v_fma_f32 v12, v18, v13, -v19
	v_mul_f32_e32 v13, v31, v15
	v_mul_f32_e32 v18, v33, v11
	v_fmac_f32_e32 v16, v28, v8
	v_mul_f32_e32 v8, v31, v14
	v_fma_f32 v17, v28, v9, -v2
	v_add_f32_e32 v9, v4, v56
	v_fmac_f32_e32 v13, v30, v14
	v_mul_f32_e32 v2, v33, v10
	v_fma_f32 v14, v30, v15, -v8
	v_mul_f32_e32 v15, v35, v55
	v_mul_f32_e32 v8, v35, v54
	v_dual_fmac_f32 v18, v32, v10 :: v_dual_mul_f32 v29, v27, v51
	v_fma_f32 v19, v32, v11, -v2
	s_delay_alu instid0(VALU_DEP_4) | instskip(NEXT) | instid1(VALU_DEP_3)
	v_dual_mul_f32 v28, v25, v53 :: v_dual_fmac_f32 v15, v34, v54
	v_dual_mul_f32 v2, v25, v52 :: v_dual_fmac_f32 v29, v26, v50
	v_fma_f32 v25, v34, v55, -v8
	v_dual_mul_f32 v8, v27, v50 :: v_dual_sub_f32 v11, v56, v57
	s_delay_alu instid0(VALU_DEP_3) | instskip(SKIP_2) | instid1(VALU_DEP_4)
	v_fma_f32 v27, v24, v53, -v2
	v_add_f32_e32 v2, v56, v57
	v_sub_f32_e32 v10, v3, v12
	v_fma_f32 v26, v26, v51, -v8
	v_add_f32_e32 v8, v3, v12
	v_sub_f32_e32 v30, v19, v25
	v_fma_f32 v2, -0.5, v2, v4
	v_add_f32_e32 v4, v9, v57
	v_add_f32_e32 v9, v5, v3
	v_fma_f32 v3, -0.5, v8, v5
	v_fmac_f32_e32 v28, v24, v52
	v_sub_f32_e32 v24, v17, v14
	s_barrier_signal -1
	v_add_f32_e32 v5, v9, v12
	v_fmamk_f32 v9, v11, 0x3f5db3d7, v3
	v_fmac_f32_e32 v3, 0xbf5db3d7, v11
	v_dual_add_f32 v11, v17, v14 :: v_dual_fmamk_f32 v8, v10, 0xbf5db3d7, v2
	v_dual_add_f32 v17, v7, v17 :: v_dual_add_f32 v12, v6, v16
	s_barrier_wait -1
	s_delay_alu instid0(VALU_DEP_2) | instskip(NEXT) | instid1(VALU_DEP_2)
	v_dual_fmac_f32 v7, -0.5, v11 :: v_dual_fmac_f32 v2, 0x3f5db3d7, v10
	v_dual_add_f32 v10, v16, v13 :: v_dual_add_f32 v11, v17, v14
	v_sub_f32_e32 v16, v16, v13
	v_dual_add_f32 v14, v18, v15 :: v_dual_add_f32 v17, v0, v18
	s_delay_alu instid0(VALU_DEP_3) | instskip(SKIP_1) | instid1(VALU_DEP_4)
	v_fma_f32 v6, -0.5, v10, v6
	v_add_f32_e32 v10, v12, v13
	v_fmamk_f32 v13, v16, 0x3f5db3d7, v7
	v_dual_fmac_f32 v7, 0xbf5db3d7, v16 :: v_dual_add_f32 v16, v19, v25
	v_fma_f32 v0, -0.5, v14, v0
	v_add_f32_e32 v14, v17, v15
	v_add_f32_e32 v17, v1, v19
	v_dual_add_f32 v19, v49, v27 :: v_dual_fmamk_f32 v12, v24, 0xbf5db3d7, v6
	v_dual_fmac_f32 v1, -0.5, v16 :: v_dual_sub_f32 v16, v18, v15
	s_delay_alu instid0(VALU_DEP_3) | instskip(SKIP_2) | instid1(VALU_DEP_4)
	v_dual_fmac_f32 v6, 0x3f5db3d7, v24 :: v_dual_add_f32 v15, v17, v25
	v_add_f32_e32 v17, v28, v29
	v_add_f32_e32 v18, v48, v28
	v_fmamk_f32 v25, v16, 0x3f5db3d7, v1
	v_dual_fmac_f32 v1, 0xbf5db3d7, v16 :: v_dual_add_f32 v16, v27, v26
	v_fmamk_f32 v24, v30, 0xbf5db3d7, v0
	v_dual_fmac_f32 v48, -0.5, v17 :: v_dual_sub_f32 v17, v27, v26
	v_sub_f32_e32 v27, v28, v29
	s_delay_alu instid0(VALU_DEP_4) | instskip(SKIP_1) | instid1(VALU_DEP_4)
	v_dual_fmac_f32 v49, -0.5, v16 :: v_dual_fmac_f32 v0, 0x3f5db3d7, v30
	v_add_f32_e32 v16, v18, v29
	v_fmamk_f32 v18, v17, 0xbf5db3d7, v48
	v_dual_fmac_f32 v48, 0x3f5db3d7, v17 :: v_dual_add_f32 v17, v19, v26
	s_delay_alu instid0(VALU_DEP_4)
	v_fmamk_f32 v19, v27, 0x3f5db3d7, v49
	v_fmac_f32_e32 v49, 0xbf5db3d7, v27
	global_inv scope:SCOPE_SE
	ds_store_2addr_b64 v105, v[4:5], v[8:9] offset1:100
	ds_store_b64 v105, v[2:3] offset:1600
	ds_store_2addr_b64 v110, v[10:11], v[12:13] offset1:100
	ds_store_b64 v110, v[6:7] offset:1600
	;; [unrolled: 2-line block ×3, first 2 shown]
	s_and_saveexec_b32 s0, vcc_lo
	s_cbranch_execz .LBB0_13
; %bb.12:
	v_lshl_add_u32 v0, v66, 3, v106
	s_delay_alu instid0(VALU_DEP_1)
	v_add_nc_u32_e32 v1, 0x1000, v0
	ds_store_2addr_b64 v1, v[16:17], v[18:19] offset0:88 offset1:188
	ds_store_b64 v0, v[48:49] offset:6400
.LBB0_13:
	s_wait_alu 0xfffe
	s_or_b32 exec_lo, exec_lo, s0
	v_add_nc_u32_e32 v0, 0x400, v105
	v_add_nc_u32_e32 v8, 0x1000, v105
	;; [unrolled: 1-line block ×3, first 2 shown]
	global_wb scope:SCOPE_SE
	s_wait_dscnt 0x0
	s_barrier_signal -1
	s_barrier_wait -1
	global_inv scope:SCOPE_SE
	ds_load_2addr_b64 v[4:7], v105 offset1:90
	ds_load_2addr_b64 v[0:3], v0 offset0:52 offset1:172
	ds_load_2addr_b64 v[12:15], v8 offset0:88 offset1:178
	;; [unrolled: 1-line block ×3, first 2 shown]
	ds_load_b64 v[24:25], v105 offset:6240
	v_add_nc_u32_e32 v26, 0x5a0, v105
	s_and_saveexec_b32 s0, vcc_lo
	s_cbranch_execz .LBB0_15
; %bb.14:
	ds_load_b64 v[16:17], v105 offset:2160
	ds_load_b64 v[18:19], v105 offset:4560
	ds_load_b64 v[48:49], v105 offset:6960
.LBB0_15:
	s_wait_alu 0xfffe
	s_or_b32 exec_lo, exec_lo, s0
	s_wait_dscnt 0x2
	v_dual_mul_f32 v27, v37, v3 :: v_dual_mul_f32 v30, v39, v12
	v_dual_mul_f32 v28, v37, v2 :: v_dual_mul_f32 v29, v39, v13
	s_wait_dscnt 0x1
	v_mul_f32_e32 v31, v41, v11
	s_delay_alu instid0(VALU_DEP_3) | instskip(NEXT) | instid1(VALU_DEP_3)
	v_dual_fmac_f32 v27, v36, v2 :: v_dual_mul_f32 v2, v45, v8
	v_fma_f32 v3, v36, v3, -v28
	v_dual_mul_f32 v28, v45, v9 :: v_dual_fmac_f32 v29, v38, v12
	v_fma_f32 v12, v38, v13, -v30
	v_mul_f32_e32 v13, v47, v15
	v_fma_f32 v30, v44, v9, -v2
	s_delay_alu instid0(VALU_DEP_4)
	v_fmac_f32_e32 v28, v44, v8
	v_mul_f32_e32 v8, v47, v14
	v_mul_f32_e32 v2, v41, v10
	v_fmac_f32_e32 v13, v46, v14
	v_fmac_f32_e32 v31, v40, v10
	v_add_f32_e32 v9, v4, v27
	v_fma_f32 v14, v46, v15, -v8
	s_wait_dscnt 0x0
	v_mul_f32_e32 v15, v43, v25
	v_mul_f32_e32 v8, v43, v24
	v_fma_f32 v32, v40, v11, -v2
	v_add_f32_e32 v2, v27, v29
	v_sub_f32_e32 v10, v3, v12
	s_delay_alu instid0(VALU_DEP_4)
	v_fma_f32 v25, v42, v25, -v8
	v_add_f32_e32 v8, v3, v12
	v_fmac_f32_e32 v15, v42, v24
	v_fma_f32 v2, -0.5, v2, v4
	v_add_f32_e32 v4, v9, v29
	v_add_f32_e32 v9, v5, v3
	v_fma_f32 v3, -0.5, v8, v5
	s_delay_alu instid0(VALU_DEP_4) | instskip(NEXT) | instid1(VALU_DEP_3)
	v_dual_sub_f32 v11, v27, v29 :: v_dual_fmamk_f32 v8, v10, 0xbf5db3d7, v2
	v_dual_fmac_f32 v2, 0x3f5db3d7, v10 :: v_dual_add_f32 v5, v9, v12
	s_delay_alu instid0(VALU_DEP_2) | instskip(SKIP_2) | instid1(VALU_DEP_3)
	v_dual_add_f32 v10, v28, v13 :: v_dual_fmamk_f32 v9, v11, 0x3f5db3d7, v3
	v_dual_add_f32 v12, v6, v28 :: v_dual_fmac_f32 v3, 0xbf5db3d7, v11
	v_add_f32_e32 v11, v30, v14
	v_fma_f32 v6, -0.5, v10, v6
	v_dual_add_f32 v27, v7, v30 :: v_dual_sub_f32 v28, v28, v13
	s_delay_alu instid0(VALU_DEP_4) | instskip(NEXT) | instid1(VALU_DEP_4)
	v_add_f32_e32 v10, v12, v13
	v_dual_sub_f32 v24, v30, v14 :: v_dual_fmac_f32 v7, -0.5, v11
	s_delay_alu instid0(VALU_DEP_3) | instskip(SKIP_1) | instid1(VALU_DEP_3)
	v_add_f32_e32 v11, v27, v14
	v_dual_add_f32 v14, v31, v15 :: v_dual_add_f32 v29, v1, v32
	v_fmamk_f32 v12, v24, 0xbf5db3d7, v6
	s_delay_alu instid0(VALU_DEP_4) | instskip(SKIP_2) | instid1(VALU_DEP_2)
	v_dual_fmac_f32 v6, 0x3f5db3d7, v24 :: v_dual_fmamk_f32 v13, v28, 0x3f5db3d7, v7
	v_dual_add_f32 v24, v32, v25 :: v_dual_fmac_f32 v7, 0xbf5db3d7, v28
	v_sub_f32_e32 v28, v32, v25
	v_dual_sub_f32 v30, v31, v15 :: v_dual_fmac_f32 v1, -0.5, v24
	v_add_f32_e32 v27, v0, v31
	v_fma_f32 v0, -0.5, v14, v0
	s_delay_alu instid0(VALU_DEP_1) | instskip(SKIP_1) | instid1(VALU_DEP_4)
	v_fmamk_f32 v24, v28, 0xbf5db3d7, v0
	v_fmac_f32_e32 v0, 0x3f5db3d7, v28
	v_dual_add_f32 v14, v27, v15 :: v_dual_add_f32 v15, v29, v25
	v_fmamk_f32 v25, v30, 0x3f5db3d7, v1
	v_fmac_f32_e32 v1, 0xbf5db3d7, v30
	ds_store_b64 v105, v[4:5]
	ds_store_b64 v60, v[8:9] offset:2400
	ds_store_b64 v60, v[2:3] offset:4800
	;; [unrolled: 1-line block ×8, first 2 shown]
	s_and_saveexec_b32 s0, vcc_lo
	s_cbranch_execz .LBB0_17
; %bb.16:
	v_dual_mul_f32 v0, v21, v18 :: v_dual_mul_f32 v1, v23, v48
	s_delay_alu instid0(VALU_DEP_1) | instskip(NEXT) | instid1(VALU_DEP_2)
	v_fma_f32 v0, v20, v19, -v0
	v_fma_f32 v3, v22, v49, -v1
	s_delay_alu instid0(VALU_DEP_2) | instskip(NEXT) | instid1(VALU_DEP_1)
	v_dual_mul_f32 v4, v23, v49 :: v_dual_add_f32 v7, v17, v0
	v_dual_add_f32 v1, v0, v3 :: v_dual_fmac_f32 v4, v22, v48
	s_delay_alu instid0(VALU_DEP_1) | instskip(SKIP_2) | instid1(VALU_DEP_2)
	v_fma_f32 v1, -0.5, v1, v17
	v_mul_f32_e32 v2, v21, v19
	v_sub_f32_e32 v8, v0, v3
	v_dual_add_f32 v3, v7, v3 :: v_dual_fmac_f32 v2, v20, v18
	s_delay_alu instid0(VALU_DEP_1) | instskip(SKIP_2) | instid1(VALU_DEP_3)
	v_add_f32_e32 v5, v2, v4
	v_sub_f32_e32 v6, v2, v4
	v_add_f32_e32 v2, v16, v2
	v_fma_f32 v0, -0.5, v5, v16
	s_delay_alu instid0(VALU_DEP_3) | instskip(NEXT) | instid1(VALU_DEP_3)
	v_fmamk_f32 v5, v6, 0xbf5db3d7, v1
	v_dual_add_f32 v2, v2, v4 :: v_dual_fmac_f32 v1, 0x3f5db3d7, v6
	s_delay_alu instid0(VALU_DEP_3)
	v_fmamk_f32 v4, v8, 0x3f5db3d7, v0
	v_fmac_f32_e32 v0, 0xbf5db3d7, v8
	ds_store_b64 v105, v[2:3] offset:2160
	ds_store_b64 v60, v[0:1] offset:4560
	;; [unrolled: 1-line block ×3, first 2 shown]
.LBB0_17:
	s_wait_alu 0xfffe
	s_or_b32 exec_lo, exec_lo, s0
	global_wb scope:SCOPE_SE
	s_wait_dscnt 0x0
	s_barrier_signal -1
	s_barrier_wait -1
	global_inv scope:SCOPE_SE
	ds_load_2addr_b64 v[0:3], v105 offset1:90
	v_add_nc_u32_e32 v4, 0x400, v105
	v_add_nc_u32_e32 v8, 0x800, v105
	s_mov_b32 s0, 0x789abcdf
	s_mov_b32 s1, 0x3f523456
	v_mad_co_u64_u32 v[16:17], null, s6, v64, 0
	v_mad_co_u64_u32 v[42:43], null, s4, v65, 0
	s_wait_dscnt 0x0
	v_mul_f32_e32 v21, v78, v2
	v_mul_f32_e32 v19, v76, v0
	ds_load_2addr_b64 v[4:7], v4 offset0:52 offset1:142
	ds_load_2addr_b64 v[8:11], v8 offset0:104 offset1:194
	v_mul_f32_e32 v18, v76, v1
	v_add_nc_u32_e32 v12, 0x1000, v105
	s_wait_dscnt 0x1
	v_dual_mul_f32 v20, v78, v3 :: v_dual_mul_f32 v29, v68, v6
	s_wait_dscnt 0x0
	v_dual_mul_f32 v33, v74, v10 :: v_dual_fmac_f32 v18, v75, v0
	v_fma_f32 v0, v75, v1, -v19
	v_fma_f32 v1, v77, v3, -v21
	v_dual_mul_f32 v30, v72, v9 :: v_dual_mul_f32 v3, v82, v4
	ds_load_2addr_b64 v[12:15], v12 offset0:28 offset1:118
	v_fmac_f32_e32 v20, v77, v2
	v_cvt_f64_f32_e32 v[22:23], v1
	v_add_nc_u32_e32 v1, 0x1400, v105
	v_cvt_f64_f32_e32 v[18:19], v18
	v_mul_f32_e32 v2, v82, v5
	v_fma_f32 v3, v81, v5, -v3
	v_fma_f32 v29, v67, v7, -v29
	v_mul_f32_e32 v32, v74, v11
	v_fma_f32 v33, v73, v11, -v33
	s_delay_alu instid0(VALU_DEP_4) | instskip(NEXT) | instid1(VALU_DEP_3)
	v_cvt_f64_f32_e32 v[26:27], v3
	v_fmac_f32_e32 v32, v73, v10
	s_delay_alu instid0(VALU_DEP_1)
	v_cvt_f64_f32_e32 v[10:11], v32
	s_wait_dscnt 0x0
	v_mul_f32_e32 v35, v80, v12
	v_cvt_f64_f32_e32 v[20:21], v20
	v_mul_f32_e32 v36, v70, v15
	v_mul_f32_e32 v34, v80, v13
	s_delay_alu instid0(VALU_DEP_4) | instskip(NEXT) | instid1(VALU_DEP_3)
	v_fma_f32 v35, v79, v13, -v35
	v_fmac_f32_e32 v36, v69, v14
	v_mul_f32_e32 v14, v70, v14
	s_delay_alu instid0(VALU_DEP_4) | instskip(SKIP_1) | instid1(VALU_DEP_4)
	v_fmac_f32_e32 v34, v79, v12
	v_cvt_f64_f32_e32 v[12:13], v33
	v_cvt_f64_f32_e32 v[36:37], v36
	s_delay_alu instid0(VALU_DEP_4) | instskip(NEXT) | instid1(VALU_DEP_4)
	v_fma_f32 v14, v69, v15, -v14
	v_cvt_f64_f32_e32 v[32:33], v34
	v_cvt_f64_f32_e32 v[34:35], v35
	s_wait_alu 0xfffe
	v_mul_f64_e32 v[22:23], s[0:1], v[22:23]
	v_mul_f64_e32 v[18:19], s[0:1], v[18:19]
	;; [unrolled: 1-line block ×9, first 2 shown]
	v_mad_co_u64_u32 v[44:45], null, s7, v64, v[17:18]
	v_dual_mov_b32 v17, v43 :: v_dual_fmac_f32 v2, v81, v4
	v_cvt_f64_f32_e32 v[4:5], v0
	v_fmac_f32_e32 v30, v71, v8
	s_delay_alu instid0(VALU_DEP_3) | instskip(SKIP_4) | instid1(VALU_DEP_4)
	v_mad_co_u64_u32 v[45:46], null, s5, v65, v[17:18]
	v_mov_b32_e32 v17, v44
	v_mul_f32_e32 v0, v72, v8
	v_cvt_f64_f32_e32 v[24:25], v2
	v_cvt_f32_f64_e32 v18, v[18:19]
	v_lshlrev_b64_e32 v[16:17], 3, v[16:17]
	v_mov_b32_e32 v43, v45
	v_fma_f32 v31, v71, v9, -v0
	ds_load_2addr_b64 v[0:3], v1 offset0:80 offset1:170
	v_mul_f32_e32 v28, v68, v7
	v_cvt_f64_f32_e32 v[8:9], v29
	v_lshlrev_b64_e32 v[42:43], 3, v[42:43]
	v_add_co_u32 v16, vcc_lo, s2, v16
	s_wait_alu 0xfffd
	v_add_co_ci_u32_e32 v17, vcc_lo, s3, v17, vcc_lo
	v_cvt_f32_f64_e32 v10, v[10:11]
	v_cvt_f32_f64_e32 v11, v[12:13]
	;; [unrolled: 1-line block ×4, first 2 shown]
	s_wait_dscnt 0x0
	v_mul_f32_e32 v41, v86, v2
	v_fmac_f32_e32 v28, v67, v6
	v_mul_f32_e32 v38, v84, v1
	v_dual_mul_f32 v39, v84, v0 :: v_dual_mul_f32 v40, v86, v3
	s_delay_alu instid0(VALU_DEP_4) | instskip(NEXT) | instid1(VALU_DEP_4)
	v_fma_f32 v41, v85, v3, -v41
	v_cvt_f64_f32_e32 v[6:7], v28
	s_delay_alu instid0(VALU_DEP_4) | instskip(NEXT) | instid1(VALU_DEP_4)
	v_fmac_f32_e32 v38, v83, v0
	v_fma_f32 v15, v83, v1, -v39
	v_fmac_f32_e32 v40, v85, v2
	v_cvt_f64_f32_e32 v[28:29], v30
	v_cvt_f64_f32_e32 v[30:31], v31
	;; [unrolled: 1-line block ×7, first 2 shown]
	v_mul_f64_e32 v[4:5], s[0:1], v[4:5]
	v_mul_f64_e32 v[24:25], s[0:1], v[24:25]
	;; [unrolled: 1-line block ×11, first 2 shown]
	v_cvt_f32_f64_e32 v19, v[4:5]
	v_add_co_u32 v4, vcc_lo, v16, v42
	s_wait_alu 0xfffd
	v_add_co_ci_u32_e32 v5, vcc_lo, v17, v43, vcc_lo
	v_cvt_f32_f64_e32 v16, v[20:21]
	v_cvt_f32_f64_e32 v17, v[22:23]
	;; [unrolled: 1-line block ×4, first 2 shown]
	s_mul_u64 s[0:1], s[4:5], 0x2d0
	v_cvt_f32_f64_e32 v26, v[36:37]
	s_wait_alu 0xfffe
	v_add_co_u32 v20, vcc_lo, v4, s0
	s_wait_alu 0xfffd
	v_add_co_ci_u32_e32 v21, vcc_lo, s1, v5, vcc_lo
	v_cvt_f32_f64_e32 v6, v[6:7]
	v_cvt_f32_f64_e32 v7, v[8:9]
	v_add_co_u32 v8, vcc_lo, v20, s0
	v_cvt_f32_f64_e32 v24, v[28:29]
	v_cvt_f32_f64_e32 v25, v[30:31]
	s_wait_alu 0xfffd
	v_add_co_ci_u32_e32 v9, vcc_lo, s1, v21, vcc_lo
	v_cvt_f32_f64_e32 v27, v[0:1]
	v_cvt_f32_f64_e32 v0, v[2:3]
	;; [unrolled: 1-line block ×5, first 2 shown]
	v_add_co_u32 v14, vcc_lo, v8, s0
	s_wait_alu 0xfffd
	v_add_co_ci_u32_e32 v15, vcc_lo, s1, v9, vcc_lo
	global_store_b64 v[4:5], v[18:19], off
	v_add_co_u32 v28, vcc_lo, v14, s0
	s_wait_alu 0xfffd
	v_add_co_ci_u32_e32 v29, vcc_lo, s1, v15, vcc_lo
	global_store_b64 v[20:21], v[16:17], off
	;; [unrolled: 4-line block ×3, first 2 shown]
	v_add_co_u32 v16, vcc_lo, v4, s0
	s_wait_alu 0xfffd
	v_add_co_ci_u32_e32 v17, vcc_lo, s1, v5, vcc_lo
	s_delay_alu instid0(VALU_DEP_2) | instskip(SKIP_1) | instid1(VALU_DEP_2)
	v_add_co_u32 v8, vcc_lo, v16, s0
	s_wait_alu 0xfffd
	v_add_co_ci_u32_e32 v9, vcc_lo, s1, v17, vcc_lo
	global_store_b64 v[14:15], v[6:7], off
	v_add_co_u32 v6, vcc_lo, v8, s0
	s_wait_alu 0xfffd
	v_add_co_ci_u32_e32 v7, vcc_lo, s1, v9, vcc_lo
	global_store_b64 v[28:29], v[24:25], off
	;; [unrolled: 4-line block ×3, first 2 shown]
	global_store_b64 v[16:17], v[12:13], off
	global_store_b64 v[8:9], v[26:27], off
	;; [unrolled: 1-line block ×4, first 2 shown]
.LBB0_18:
	s_nop 0
	s_sendmsg sendmsg(MSG_DEALLOC_VGPRS)
	s_endpgm
	.section	.rodata,"a",@progbits
	.p2align	6, 0x0
	.amdhsa_kernel bluestein_single_fwd_len900_dim1_sp_op_CI_CI
		.amdhsa_group_segment_fixed_size 14400
		.amdhsa_private_segment_fixed_size 0
		.amdhsa_kernarg_size 104
		.amdhsa_user_sgpr_count 2
		.amdhsa_user_sgpr_dispatch_ptr 0
		.amdhsa_user_sgpr_queue_ptr 0
		.amdhsa_user_sgpr_kernarg_segment_ptr 1
		.amdhsa_user_sgpr_dispatch_id 0
		.amdhsa_user_sgpr_private_segment_size 0
		.amdhsa_wavefront_size32 1
		.amdhsa_uses_dynamic_stack 0
		.amdhsa_enable_private_segment 0
		.amdhsa_system_sgpr_workgroup_id_x 1
		.amdhsa_system_sgpr_workgroup_id_y 0
		.amdhsa_system_sgpr_workgroup_id_z 0
		.amdhsa_system_sgpr_workgroup_info 0
		.amdhsa_system_vgpr_workitem_id 0
		.amdhsa_next_free_vgpr 141
		.amdhsa_next_free_sgpr 20
		.amdhsa_reserve_vcc 1
		.amdhsa_float_round_mode_32 0
		.amdhsa_float_round_mode_16_64 0
		.amdhsa_float_denorm_mode_32 3
		.amdhsa_float_denorm_mode_16_64 3
		.amdhsa_fp16_overflow 0
		.amdhsa_workgroup_processor_mode 1
		.amdhsa_memory_ordered 1
		.amdhsa_forward_progress 0
		.amdhsa_round_robin_scheduling 0
		.amdhsa_exception_fp_ieee_invalid_op 0
		.amdhsa_exception_fp_denorm_src 0
		.amdhsa_exception_fp_ieee_div_zero 0
		.amdhsa_exception_fp_ieee_overflow 0
		.amdhsa_exception_fp_ieee_underflow 0
		.amdhsa_exception_fp_ieee_inexact 0
		.amdhsa_exception_int_div_zero 0
	.end_amdhsa_kernel
	.text
.Lfunc_end0:
	.size	bluestein_single_fwd_len900_dim1_sp_op_CI_CI, .Lfunc_end0-bluestein_single_fwd_len900_dim1_sp_op_CI_CI
                                        ; -- End function
	.section	.AMDGPU.csdata,"",@progbits
; Kernel info:
; codeLenInByte = 11028
; NumSgprs: 22
; NumVgprs: 141
; ScratchSize: 0
; MemoryBound: 0
; FloatMode: 240
; IeeeMode: 1
; LDSByteSize: 14400 bytes/workgroup (compile time only)
; SGPRBlocks: 2
; VGPRBlocks: 17
; NumSGPRsForWavesPerEU: 22
; NumVGPRsForWavesPerEU: 141
; Occupancy: 10
; WaveLimiterHint : 1
; COMPUTE_PGM_RSRC2:SCRATCH_EN: 0
; COMPUTE_PGM_RSRC2:USER_SGPR: 2
; COMPUTE_PGM_RSRC2:TRAP_HANDLER: 0
; COMPUTE_PGM_RSRC2:TGID_X_EN: 1
; COMPUTE_PGM_RSRC2:TGID_Y_EN: 0
; COMPUTE_PGM_RSRC2:TGID_Z_EN: 0
; COMPUTE_PGM_RSRC2:TIDIG_COMP_CNT: 0
	.text
	.p2alignl 7, 3214868480
	.fill 96, 4, 3214868480
	.type	__hip_cuid_a530b31347527d8,@object ; @__hip_cuid_a530b31347527d8
	.section	.bss,"aw",@nobits
	.globl	__hip_cuid_a530b31347527d8
__hip_cuid_a530b31347527d8:
	.byte	0                               ; 0x0
	.size	__hip_cuid_a530b31347527d8, 1

	.ident	"AMD clang version 19.0.0git (https://github.com/RadeonOpenCompute/llvm-project roc-6.4.0 25133 c7fe45cf4b819c5991fe208aaa96edf142730f1d)"
	.section	".note.GNU-stack","",@progbits
	.addrsig
	.addrsig_sym __hip_cuid_a530b31347527d8
	.amdgpu_metadata
---
amdhsa.kernels:
  - .args:
      - .actual_access:  read_only
        .address_space:  global
        .offset:         0
        .size:           8
        .value_kind:     global_buffer
      - .actual_access:  read_only
        .address_space:  global
        .offset:         8
        .size:           8
        .value_kind:     global_buffer
      - .actual_access:  read_only
        .address_space:  global
        .offset:         16
        .size:           8
        .value_kind:     global_buffer
      - .actual_access:  read_only
        .address_space:  global
        .offset:         24
        .size:           8
        .value_kind:     global_buffer
      - .actual_access:  read_only
        .address_space:  global
        .offset:         32
        .size:           8
        .value_kind:     global_buffer
      - .offset:         40
        .size:           8
        .value_kind:     by_value
      - .address_space:  global
        .offset:         48
        .size:           8
        .value_kind:     global_buffer
      - .address_space:  global
        .offset:         56
        .size:           8
        .value_kind:     global_buffer
      - .address_space:  global
        .offset:         64
        .size:           8
        .value_kind:     global_buffer
      - .address_space:  global
        .offset:         72
        .size:           8
        .value_kind:     global_buffer
      - .offset:         80
        .size:           4
        .value_kind:     by_value
      - .address_space:  global
        .offset:         88
        .size:           8
        .value_kind:     global_buffer
      - .address_space:  global
        .offset:         96
        .size:           8
        .value_kind:     global_buffer
    .group_segment_fixed_size: 14400
    .kernarg_segment_align: 8
    .kernarg_segment_size: 104
    .language:       OpenCL C
    .language_version:
      - 2
      - 0
    .max_flat_workgroup_size: 180
    .name:           bluestein_single_fwd_len900_dim1_sp_op_CI_CI
    .private_segment_fixed_size: 0
    .sgpr_count:     22
    .sgpr_spill_count: 0
    .symbol:         bluestein_single_fwd_len900_dim1_sp_op_CI_CI.kd
    .uniform_work_group_size: 1
    .uses_dynamic_stack: false
    .vgpr_count:     141
    .vgpr_spill_count: 0
    .wavefront_size: 32
    .workgroup_processor_mode: 1
amdhsa.target:   amdgcn-amd-amdhsa--gfx1201
amdhsa.version:
  - 1
  - 2
...

	.end_amdgpu_metadata
